;; amdgpu-corpus repo=ROCm/rocFFT kind=compiled arch=gfx1030 opt=O3
	.text
	.amdgcn_target "amdgcn-amd-amdhsa--gfx1030"
	.amdhsa_code_object_version 6
	.protected	fft_rtc_back_len1352_factors_2_13_13_4_wgs_52_tpt_52_halfLds_sp_ip_CI_unitstride_sbrr_dirReg ; -- Begin function fft_rtc_back_len1352_factors_2_13_13_4_wgs_52_tpt_52_halfLds_sp_ip_CI_unitstride_sbrr_dirReg
	.globl	fft_rtc_back_len1352_factors_2_13_13_4_wgs_52_tpt_52_halfLds_sp_ip_CI_unitstride_sbrr_dirReg
	.p2align	8
	.type	fft_rtc_back_len1352_factors_2_13_13_4_wgs_52_tpt_52_halfLds_sp_ip_CI_unitstride_sbrr_dirReg,@function
fft_rtc_back_len1352_factors_2_13_13_4_wgs_52_tpt_52_halfLds_sp_ip_CI_unitstride_sbrr_dirReg: ; @fft_rtc_back_len1352_factors_2_13_13_4_wgs_52_tpt_52_halfLds_sp_ip_CI_unitstride_sbrr_dirReg
; %bb.0:
	s_clause 0x2
	s_load_dwordx4 s[8:11], s[4:5], 0x0
	s_load_dwordx2 s[2:3], s[4:5], 0x50
	s_load_dwordx2 s[12:13], s[4:5], 0x18
	v_mul_u32_u24_e32 v2, 0x4ed, v0
	v_mov_b32_e32 v1, 0
	v_mov_b32_e32 v3, 0
	;; [unrolled: 1-line block ×3, first 2 shown]
	v_add_nc_u32_sdwa v5, s6, v2 dst_sel:DWORD dst_unused:UNUSED_PAD src0_sel:DWORD src1_sel:WORD_1
	v_mov_b32_e32 v6, v1
	s_waitcnt lgkmcnt(0)
	v_cmp_lt_u64_e64 s0, s[10:11], 2
	s_and_b32 vcc_lo, exec_lo, s0
	s_cbranch_vccnz .LBB0_8
; %bb.1:
	s_load_dwordx2 s[0:1], s[4:5], 0x10
	v_mov_b32_e32 v3, 0
	s_add_u32 s6, s12, 8
	v_mov_b32_e32 v4, 0
	s_addc_u32 s7, s13, 0
	s_mov_b64 s[16:17], 1
	s_waitcnt lgkmcnt(0)
	s_add_u32 s14, s0, 8
	s_addc_u32 s15, s1, 0
.LBB0_2:                                ; =>This Inner Loop Header: Depth=1
	s_load_dwordx2 s[18:19], s[14:15], 0x0
                                        ; implicit-def: $vgpr9_vgpr10
	s_mov_b32 s0, exec_lo
	s_waitcnt lgkmcnt(0)
	v_or_b32_e32 v2, s19, v6
	v_cmpx_ne_u64_e32 0, v[1:2]
	s_xor_b32 s1, exec_lo, s0
	s_cbranch_execz .LBB0_4
; %bb.3:                                ;   in Loop: Header=BB0_2 Depth=1
	v_cvt_f32_u32_e32 v2, s18
	v_cvt_f32_u32_e32 v7, s19
	s_sub_u32 s0, 0, s18
	s_subb_u32 s20, 0, s19
	v_fmac_f32_e32 v2, 0x4f800000, v7
	v_rcp_f32_e32 v2, v2
	v_mul_f32_e32 v2, 0x5f7ffffc, v2
	v_mul_f32_e32 v7, 0x2f800000, v2
	v_trunc_f32_e32 v7, v7
	v_fmac_f32_e32 v2, 0xcf800000, v7
	v_cvt_u32_f32_e32 v7, v7
	v_cvt_u32_f32_e32 v2, v2
	v_mul_lo_u32 v8, s0, v7
	v_mul_hi_u32 v9, s0, v2
	v_mul_lo_u32 v10, s20, v2
	v_add_nc_u32_e32 v8, v9, v8
	v_mul_lo_u32 v9, s0, v2
	v_add_nc_u32_e32 v8, v8, v10
	v_mul_hi_u32 v10, v2, v9
	v_mul_lo_u32 v11, v2, v8
	v_mul_hi_u32 v12, v2, v8
	v_mul_hi_u32 v13, v7, v9
	v_mul_lo_u32 v9, v7, v9
	v_mul_hi_u32 v14, v7, v8
	v_mul_lo_u32 v8, v7, v8
	v_add_co_u32 v10, vcc_lo, v10, v11
	v_add_co_ci_u32_e32 v11, vcc_lo, 0, v12, vcc_lo
	v_add_co_u32 v9, vcc_lo, v10, v9
	v_add_co_ci_u32_e32 v9, vcc_lo, v11, v13, vcc_lo
	v_add_co_ci_u32_e32 v10, vcc_lo, 0, v14, vcc_lo
	v_add_co_u32 v8, vcc_lo, v9, v8
	v_add_co_ci_u32_e32 v9, vcc_lo, 0, v10, vcc_lo
	v_add_co_u32 v2, vcc_lo, v2, v8
	v_add_co_ci_u32_e32 v7, vcc_lo, v7, v9, vcc_lo
	v_mul_hi_u32 v8, s0, v2
	v_mul_lo_u32 v10, s20, v2
	v_mul_lo_u32 v9, s0, v7
	v_add_nc_u32_e32 v8, v8, v9
	v_mul_lo_u32 v9, s0, v2
	v_add_nc_u32_e32 v8, v8, v10
	v_mul_hi_u32 v10, v2, v9
	v_mul_lo_u32 v11, v2, v8
	v_mul_hi_u32 v12, v2, v8
	v_mul_hi_u32 v13, v7, v9
	v_mul_lo_u32 v9, v7, v9
	v_mul_hi_u32 v14, v7, v8
	v_mul_lo_u32 v8, v7, v8
	v_add_co_u32 v10, vcc_lo, v10, v11
	v_add_co_ci_u32_e32 v11, vcc_lo, 0, v12, vcc_lo
	v_add_co_u32 v9, vcc_lo, v10, v9
	v_add_co_ci_u32_e32 v9, vcc_lo, v11, v13, vcc_lo
	v_add_co_ci_u32_e32 v10, vcc_lo, 0, v14, vcc_lo
	v_add_co_u32 v8, vcc_lo, v9, v8
	v_add_co_ci_u32_e32 v9, vcc_lo, 0, v10, vcc_lo
	v_add_co_u32 v2, vcc_lo, v2, v8
	v_add_co_ci_u32_e32 v11, vcc_lo, v7, v9, vcc_lo
	v_mul_hi_u32 v13, v5, v2
	v_mad_u64_u32 v[9:10], null, v6, v2, 0
	v_mad_u64_u32 v[7:8], null, v5, v11, 0
	;; [unrolled: 1-line block ×3, first 2 shown]
	v_add_co_u32 v2, vcc_lo, v13, v7
	v_add_co_ci_u32_e32 v7, vcc_lo, 0, v8, vcc_lo
	v_add_co_u32 v2, vcc_lo, v2, v9
	v_add_co_ci_u32_e32 v2, vcc_lo, v7, v10, vcc_lo
	v_add_co_ci_u32_e32 v7, vcc_lo, 0, v12, vcc_lo
	v_add_co_u32 v2, vcc_lo, v2, v11
	v_add_co_ci_u32_e32 v9, vcc_lo, 0, v7, vcc_lo
	v_mul_lo_u32 v10, s19, v2
	v_mad_u64_u32 v[7:8], null, s18, v2, 0
	v_mul_lo_u32 v11, s18, v9
	v_sub_co_u32 v7, vcc_lo, v5, v7
	v_add3_u32 v8, v8, v11, v10
	v_sub_nc_u32_e32 v10, v6, v8
	v_subrev_co_ci_u32_e64 v10, s0, s19, v10, vcc_lo
	v_add_co_u32 v11, s0, v2, 2
	v_add_co_ci_u32_e64 v12, s0, 0, v9, s0
	v_sub_co_u32 v13, s0, v7, s18
	v_sub_co_ci_u32_e32 v8, vcc_lo, v6, v8, vcc_lo
	v_subrev_co_ci_u32_e64 v10, s0, 0, v10, s0
	v_cmp_le_u32_e32 vcc_lo, s18, v13
	v_cmp_eq_u32_e64 s0, s19, v8
	v_cndmask_b32_e64 v13, 0, -1, vcc_lo
	v_cmp_le_u32_e32 vcc_lo, s19, v10
	v_cndmask_b32_e64 v14, 0, -1, vcc_lo
	v_cmp_le_u32_e32 vcc_lo, s18, v7
	;; [unrolled: 2-line block ×3, first 2 shown]
	v_cndmask_b32_e64 v15, 0, -1, vcc_lo
	v_cmp_eq_u32_e32 vcc_lo, s19, v10
	v_cndmask_b32_e64 v7, v15, v7, s0
	v_cndmask_b32_e32 v10, v14, v13, vcc_lo
	v_add_co_u32 v13, vcc_lo, v2, 1
	v_add_co_ci_u32_e32 v14, vcc_lo, 0, v9, vcc_lo
	v_cmp_ne_u32_e32 vcc_lo, 0, v10
	v_cndmask_b32_e32 v8, v14, v12, vcc_lo
	v_cndmask_b32_e32 v11, v13, v11, vcc_lo
	v_cmp_ne_u32_e32 vcc_lo, 0, v7
	v_cndmask_b32_e32 v10, v9, v8, vcc_lo
	v_cndmask_b32_e32 v9, v2, v11, vcc_lo
.LBB0_4:                                ;   in Loop: Header=BB0_2 Depth=1
	s_andn2_saveexec_b32 s0, s1
	s_cbranch_execz .LBB0_6
; %bb.5:                                ;   in Loop: Header=BB0_2 Depth=1
	v_cvt_f32_u32_e32 v2, s18
	s_sub_i32 s1, 0, s18
	v_mov_b32_e32 v10, v1
	v_rcp_iflag_f32_e32 v2, v2
	v_mul_f32_e32 v2, 0x4f7ffffe, v2
	v_cvt_u32_f32_e32 v2, v2
	v_mul_lo_u32 v7, s1, v2
	v_mul_hi_u32 v7, v2, v7
	v_add_nc_u32_e32 v2, v2, v7
	v_mul_hi_u32 v2, v5, v2
	v_mul_lo_u32 v7, v2, s18
	v_add_nc_u32_e32 v8, 1, v2
	v_sub_nc_u32_e32 v7, v5, v7
	v_subrev_nc_u32_e32 v9, s18, v7
	v_cmp_le_u32_e32 vcc_lo, s18, v7
	v_cndmask_b32_e32 v7, v7, v9, vcc_lo
	v_cndmask_b32_e32 v2, v2, v8, vcc_lo
	v_cmp_le_u32_e32 vcc_lo, s18, v7
	v_add_nc_u32_e32 v8, 1, v2
	v_cndmask_b32_e32 v9, v2, v8, vcc_lo
.LBB0_6:                                ;   in Loop: Header=BB0_2 Depth=1
	s_or_b32 exec_lo, exec_lo, s0
	s_load_dwordx2 s[0:1], s[6:7], 0x0
	v_mul_lo_u32 v2, v10, s18
	v_mul_lo_u32 v11, v9, s19
	v_mad_u64_u32 v[7:8], null, v9, s18, 0
	s_add_u32 s16, s16, 1
	s_addc_u32 s17, s17, 0
	s_add_u32 s6, s6, 8
	s_addc_u32 s7, s7, 0
	;; [unrolled: 2-line block ×3, first 2 shown]
	v_add3_u32 v2, v8, v11, v2
	v_sub_co_u32 v5, vcc_lo, v5, v7
	v_sub_co_ci_u32_e32 v2, vcc_lo, v6, v2, vcc_lo
	s_waitcnt lgkmcnt(0)
	v_mul_lo_u32 v6, s1, v5
	v_mul_lo_u32 v2, s0, v2
	v_mad_u64_u32 v[3:4], null, s0, v5, v[3:4]
	v_cmp_ge_u64_e64 s0, s[16:17], s[10:11]
	s_and_b32 vcc_lo, exec_lo, s0
	v_add3_u32 v4, v6, v4, v2
	s_cbranch_vccnz .LBB0_9
; %bb.7:                                ;   in Loop: Header=BB0_2 Depth=1
	v_mov_b32_e32 v5, v9
	v_mov_b32_e32 v6, v10
	s_branch .LBB0_2
.LBB0_8:
	v_mov_b32_e32 v10, v6
	v_mov_b32_e32 v9, v5
.LBB0_9:
	s_lshl_b64 s[0:1], s[10:11], 3
	s_load_dwordx2 s[4:5], s[4:5], 0x20
	s_add_u32 s0, s12, s0
	s_addc_u32 s1, s13, s1
	v_mul_hi_u32 v7, 0x4ec4ec5, v0
	s_load_dwordx2 s[0:1], s[0:1], 0x0
	v_mov_b32_e32 v30, 0
	v_mov_b32_e32 v31, 0
	;; [unrolled: 1-line block ×15, first 2 shown]
	s_waitcnt lgkmcnt(0)
	v_cmp_gt_u64_e32 vcc_lo, s[4:5], v[9:10]
	v_mov_b32_e32 v20, v31
	v_mov_b32_e32 v16, v31
	;; [unrolled: 1-line block ×3, first 2 shown]
	v_mul_lo_u32 v8, s0, v10
	v_mul_lo_u32 v21, s1, v9
	v_mad_u64_u32 v[11:12], null, s0, v9, v[3:4]
	v_mul_u32_u24_e32 v3, 52, v7
	v_mov_b32_e32 v9, v30
	v_mov_b32_e32 v10, v31
                                        ; implicit-def: $vgpr37
                                        ; implicit-def: $vgpr62
                                        ; implicit-def: $vgpr35
                                        ; implicit-def: $vgpr64
                                        ; implicit-def: $vgpr58
                                        ; implicit-def: $vgpr70
                                        ; implicit-def: $vgpr72
                                        ; implicit-def: $vgpr60
                                        ; implicit-def: $vgpr68
                                        ; implicit-def: $vgpr22
                                        ; implicit-def: $vgpr74
                                        ; implicit-def: $vgpr66
                                        ; implicit-def: $vgpr56
	v_sub_nc_u32_e32 v26, v0, v3
	v_add3_u32 v12, v21, v12, v8
	v_mov_b32_e32 v3, v30
	v_mov_b32_e32 v7, v30
	;; [unrolled: 1-line block ×4, first 2 shown]
	v_lshlrev_b64 v[28:29], 3, v[11:12]
	v_mov_b32_e32 v11, v30
	v_or_b32_e32 v24, 0x340, v26
	v_mov_b32_e32 v12, v31
	s_and_saveexec_b32 s1, vcc_lo
	s_cbranch_execz .LBB0_11
; %bb.10:
	v_mov_b32_e32 v27, 0
	v_add_co_u32 v13, s0, s2, v28
	v_add_co_ci_u32_e64 v14, s0, s3, v29, s0
	v_lshlrev_b64 v[0:1], 3, v[26:27]
	v_mov_b32_e32 v25, v27
	v_lshlrev_b64 v[9:10], 3, v[24:25]
	v_add_co_u32 v7, s0, v13, v0
	v_add_co_ci_u32_e64 v8, s0, v14, v1, s0
	s_clause 0x3
	global_load_dwordx2 v[30:31], v[7:8], off
	global_load_dwordx2 v[5:6], v[7:8], off offset:416
	global_load_dwordx2 v[32:33], v[7:8], off offset:832
	;; [unrolled: 1-line block ×3, first 2 shown]
	v_add_co_u32 v11, s0, 0x1000, v7
	v_add_co_ci_u32_e64 v12, s0, 0, v8, s0
	v_add_co_u32 v3, s0, 0x1800, v7
	v_add_co_ci_u32_e64 v4, s0, 0, v8, s0
	;; [unrolled: 2-line block ×5, first 2 shown]
	s_clause 0xf
	global_load_dwordx2 v[36:37], v[11:12], off offset:1312
	global_load_dwordx2 v[61:62], v[11:12], off offset:1728
	;; [unrolled: 1-line block ×6, first 2 shown]
	global_load_dwordx2 v[55:56], v[9:10], off
	global_load_dwordx2 v[57:58], v[3:4], off offset:1760
	global_load_dwordx2 v[19:20], v[21:22], off offset:448
	;; [unrolled: 1-line block ×9, first 2 shown]
	v_add_co_u32 v21, s0, 0x2800, v7
	v_add_co_ci_u32_e64 v22, s0, 0, v8, s0
	s_clause 0x5
	global_load_dwordx2 v[75:76], v[7:8], off offset:1664
	global_load_dwordx2 v[7:8], v[11:12], off offset:64
	;; [unrolled: 1-line block ×6, first 2 shown]
.LBB0_11:
	s_or_b32 exec_lo, exec_lo, s1
	s_waitcnt vmcnt(21)
	v_sub_f32_e32 v39, v30, v36
	s_waitcnt vmcnt(19)
	v_sub_f32_e32 v41, v32, v34
	v_lshl_add_u32 v23, v26, 3, 0
	s_waitcnt vmcnt(15)
	v_sub_f32_e32 v43, v1, v55
	v_sub_f32_e32 v79, v31, v37
	v_fma_f32 v38, v30, 2.0, -v39
	v_fma_f32 v40, v32, 2.0, -v41
	v_add_nc_u32_e32 v77, 52, v26
	v_fma_f32 v42, v1, 2.0, -v43
	s_waitcnt vmcnt(8)
	v_sub_f32_e32 v1, v17, v71
	v_sub_f32_e32 v45, v15, v69
	ds_write2_b64 v23, v[38:39], v[40:41] offset1:104
	s_waitcnt vmcnt(7)
	v_sub_f32_e32 v38, v3, v59
	v_sub_f32_e32 v81, v33, v35
	v_fma_f32 v0, v17, 2.0, -v1
	v_add_nc_u32_e32 v17, 0x800, v23
	s_waitcnt vmcnt(4)
	v_sub_f32_e32 v40, v7, v67
	v_fma_f32 v37, v3, 2.0, -v38
	v_lshl_add_u32 v3, v77, 3, 0
	v_fma_f32 v44, v15, 2.0, -v45
	s_waitcnt vmcnt(1)
	v_sub_f32_e32 v47, v9, v73
	v_fma_f32 v78, v31, 2.0, -v79
	ds_write2_b64 v17, v[0:1], v[37:38] offset0:160 offset1:212
	v_sub_f32_e32 v1, v5, v61
	v_sub_f32_e32 v31, v75, v63
	v_add_nc_u32_e32 v25, 0xd0, v26
	v_add_nc_u32_e32 v59, 0x104, v26
	s_waitcnt vmcnt(0)
	v_sub_f32_e32 v37, v11, v21
	v_fma_f32 v0, v5, 2.0, -v1
	v_sub_f32_e32 v15, v14, v66
	v_fma_f32 v80, v33, 2.0, -v81
	v_sub_f32_e32 v33, v13, v65
	v_add_nc_u32_e32 v27, 0x138, v26
	ds_write_b64 v3, v[0:1]
	v_sub_f32_e32 v1, v6, v62
	v_sub_f32_e32 v21, v20, v58
	v_fma_f32 v39, v7, 2.0, -v40
	v_sub_f32_e32 v35, v19, v57
	v_lshl_add_u32 v61, v26, 2, 0
	v_sub_f32_e32 v7, v76, v64
	v_add_nc_u32_e32 v82, 0x400, v23
	v_fma_f32 v46, v9, 2.0, -v47
	v_add_nc_u32_e32 v83, 0x1000, v23
	v_fma_f32 v30, v75, 2.0, -v31
	v_lshl_add_u32 v5, v25, 3, 0
	v_lshl_add_u32 v9, v59, 3, 0
	v_fma_f32 v36, v11, 2.0, -v37
	v_fma_f32 v14, v14, 2.0, -v15
	;; [unrolled: 1-line block ×3, first 2 shown]
	v_lshl_add_u32 v13, v27, 3, 0
	v_fma_f32 v0, v6, 2.0, -v1
	v_fma_f32 v20, v20, 2.0, -v21
	v_fma_f32 v34, v19, 2.0, -v35
	v_add_nc_u32_e32 v63, 0x200, v61
	v_fma_f32 v6, v76, 2.0, -v7
	v_add_nc_u32_e32 v67, 0x400, v61
	ds_write2_b64 v82, v[42:43], v[44:45] offset0:28 offset1:236
	ds_write2_b64 v83, v[39:40], v[46:47] offset0:8 offset1:60
	ds_write_b64 v5, v[30:31]
	ds_write_b64 v9, v[32:33]
	;; [unrolled: 1-line block ×3, first 2 shown]
	ds_write_b64 v23, v[36:37] offset:4992
	s_waitcnt lgkmcnt(0)
	s_barrier
	buffer_gl0_inv
	v_add_nc_u32_e32 v65, 0x800, v61
	v_add_nc_u32_e32 v75, 0xa00, v61
	;; [unrolled: 1-line block ×5, first 2 shown]
	ds_read2_b32 v[30:31], v61 offset1:52
	ds_read2_b32 v[54:55], v61 offset0:104 offset1:156
	ds_read2_b32 v[52:53], v63 offset0:80 offset1:132
	;; [unrolled: 1-line block ×12, first 2 shown]
	s_waitcnt lgkmcnt(0)
	s_barrier
	buffer_gl0_inv
	ds_write2_b64 v23, v[78:79], v[80:81] offset1:104
	ds_write_b64 v3, v[0:1]
	ds_write_b64 v5, v[6:7]
	v_sub_f32_e32 v1, v2, v56
	v_sub_f32_e32 v3, v16, v70
	ds_write_b64 v9, v[14:15]
	ds_write_b64 v13, v[20:21]
	v_sub_f32_e32 v14, v4, v60
	v_and_b32_e32 v58, 1, v26
	v_fma_f32 v0, v2, 2.0, -v1
	v_fma_f32 v2, v16, 2.0, -v3
	v_sub_f32_e32 v16, v12, v22
	v_fma_f32 v13, v4, 2.0, -v14
	v_mul_u32_u24_e32 v4, 12, v58
	v_sub_f32_e32 v6, v18, v72
	v_sub_f32_e32 v9, v8, v68
	;; [unrolled: 1-line block ×3, first 2 shown]
	v_fma_f32 v15, v12, 2.0, -v16
	v_lshlrev_b32_e32 v20, 3, v4
	v_fma_f32 v5, v18, 2.0, -v6
	v_fma_f32 v8, v8, 2.0, -v9
	;; [unrolled: 1-line block ×3, first 2 shown]
	ds_write2_b64 v82, v[0:1], v[2:3] offset0:28 offset1:236
	ds_write2_b64 v17, v[5:6], v[13:14] offset0:160 offset1:212
	;; [unrolled: 1-line block ×3, first 2 shown]
	ds_write_b64 v23, v[15:16] offset:4992
	s_waitcnt lgkmcnt(0)
	s_barrier
	buffer_gl0_inv
	s_clause 0x5
	global_load_dwordx4 v[4:7], v20, s[8:9]
	global_load_dwordx4 v[0:3], v20, s[8:9] offset:16
	global_load_dwordx4 v[8:11], v20, s[8:9] offset:32
	;; [unrolled: 1-line block ×5, first 2 shown]
	ds_read2_b32 v[56:57], v61 offset0:104 offset1:156
	ds_read2_b32 v[78:79], v63 offset0:80 offset1:132
	;; [unrolled: 1-line block ×12, first 2 shown]
	ds_read2_b32 v[108:109], v61 offset1:52
	v_lshrrev_b32_e32 v60, 1, v26
	s_waitcnt vmcnt(0) lgkmcnt(0)
	s_barrier
	buffer_gl0_inv
	v_cmp_gt_u32_e64 s0, 26, v26
	v_mul_u32_u24_e32 v60, 26, v60
	v_or_b32_e32 v110, v60, v58
	v_mul_f32_e32 v72, v56, v5
	v_mul_f32_e32 v74, v57, v5
	;; [unrolled: 1-line block ×48, first 2 shown]
	v_fmac_f32_e32 v72, v54, v4
	v_fma_f32 v54, v56, v4, -v76
	v_fmac_f32_e32 v85, v52, v6
	v_fmac_f32_e32 v68, v53, v6
	v_fma_f32 v90, v78, v6, -v89
	v_fma_f32 v52, v79, v6, -v111
	v_fmac_f32_e32 v84, v50, v0
	v_fmac_f32_e32 v64, v51, v0
	v_fma_f32 v89, v80, v0, -v112
	v_fmac_f32_e32 v83, v48, v2
	v_fma_f32 v50, v81, v0, -v114
	;; [unrolled: 2-line block ×3, first 2 shown]
	v_fma_f32 v48, v87, v2, -v115
	v_fmac_f32_e32 v82, v46, v8
	v_fmac_f32_e32 v5, v47, v8
	v_fma_f32 v21, v91, v8, -v116
	v_fma_f32 v6, v92, v8, -v117
	v_fmac_f32_e32 v9, v44, v10
	v_fmac_f32_e32 v1, v45, v10
	v_fma_f32 v8, v93, v10, -v118
	v_fma_f32 v0, v94, v10, -v119
	v_fmac_f32_e32 v11, v42, v12
	v_fmac_f32_e32 v3, v43, v12
	v_fma_f32 v10, v95, v12, -v120
	v_fma_f32 v2, v96, v12, -v121
	v_fma_f32 v12, v106, v22, -v131
	v_fmac_f32_e32 v74, v55, v4
	v_fma_f32 v4, v57, v4, -v88
	v_fmac_f32_e32 v13, v40, v14
	v_fmac_f32_e32 v7, v41, v14
	v_fma_f32 v88, v98, v14, -v122
	v_fma_f32 v40, v99, v14, -v123
	v_fmac_f32_e32 v19, v34, v20
	v_fmac_f32_e32 v70, v35, v20
	v_fma_f32 v14, v104, v20, -v128
	v_fmac_f32_e32 v130, v32, v22
	v_fma_f32 v43, v107, v22, -v132
	v_fma_f32 v44, v105, v20, -v129
	v_sub_f32_e32 v20, v54, v12
	v_add_f32_e32 v34, v30, v72
	v_fmac_f32_e32 v97, v33, v22
	v_add_f32_e32 v22, v72, v130
	v_sub_f32_e32 v32, v4, v43
	v_add_f32_e32 v46, v4, v43
	v_add_f32_e32 v45, v109, v4
	v_mul_f32_e32 v4, 0xbeedf032, v20
	v_add_f32_e32 v34, v34, v85
	v_fmac_f32_e32 v66, v37, v18
	v_add_f32_e32 v37, v54, v12
	v_fmac_f32_e32 v15, v38, v16
	v_fmamk_f32 v79, v22, 0x3f62ad3f, v4
	v_fma_f32 v4, 0x3f62ad3f, v22, -v4
	v_add_f32_e32 v34, v34, v84
	v_fmac_f32_e32 v62, v39, v16
	v_fma_f32 v38, v100, v16, -v124
	v_fma_f32 v41, v101, v16, -v125
	v_add_f32_e32 v140, v30, v4
	v_add_f32_e32 v4, v34, v83
	v_fmac_f32_e32 v17, v36, v18
	v_fma_f32 v16, v102, v18, -v126
	v_sub_f32_e32 v36, v72, v130
	v_sub_f32_e32 v39, v74, v97
	v_add_f32_e32 v4, v4, v82
	v_sub_f32_e32 v51, v90, v14
	v_mul_f32_e32 v47, 0xbf52af12, v20
	v_mul_f32_e32 v76, 0x3f62ad3f, v37
	v_mul_f32_e32 v78, 0x3f116cb1, v37
	v_add_f32_e32 v4, v4, v9
	v_mul_f32_e32 v81, 0x3df6dbef, v37
	v_mul_f32_e32 v86, 0xbeb58ec6, v37
	;; [unrolled: 1-line block ×4, first 2 shown]
	v_add_f32_e32 v4, v4, v11
	v_mul_f32_e32 v107, 0x3f62ad3f, v46
	v_fma_f32 v42, v103, v18, -v127
	v_add_f32_e32 v33, v74, v97
	v_add_f32_e32 v35, v31, v74
	;; [unrolled: 1-line block ×5, first 2 shown]
	v_sub_f32_e32 v99, v89, v16
	v_mul_f32_e32 v49, 0xbf7e222b, v20
	v_mul_f32_e32 v53, 0xbf6f5d39, v20
	;; [unrolled: 1-line block ×16, first 2 shown]
	v_fmamk_f32 v80, v22, 0x3f116cb1, v47
	v_fmamk_f32 v123, v36, 0x3eedf032, v76
	v_fmac_f32_e32 v76, 0xbeedf032, v36
	v_fmamk_f32 v124, v36, 0x3f52af12, v78
	v_fmac_f32_e32 v78, 0xbf52af12, v36
	;; [unrolled: 2-line block ×6, first 2 shown]
	v_fmamk_f32 v36, v39, 0x3eedf032, v107
	v_add_f32_e32 v4, v4, v15
	v_add_f32_e32 v100, v84, v17
	v_sub_f32_e32 v101, v23, v38
	v_mul_f32_e32 v116, 0xbf7e222b, v99
	v_fma_f32 v47, 0x3f116cb1, v22, -v47
	v_fmamk_f32 v91, v22, 0x3df6dbef, v49
	v_fma_f32 v49, 0x3df6dbef, v22, -v49
	v_fmamk_f32 v92, v22, 0xbeb58ec6, v53
	;; [unrolled: 2-line block ×10, first 2 shown]
	v_fma_f32 v33, 0xbf788fa5, v33, -v32
	v_fmac_f32_e32 v107, 0xbeedf032, v39
	v_fmamk_f32 v129, v39, 0x3f52af12, v111
	v_fmac_f32_e32 v111, 0xbf52af12, v39
	v_fmamk_f32 v131, v39, 0x3f7e222b, v112
	;; [unrolled: 2-line block ×6, first 2 shown]
	v_add_f32_e32 v139, v30, v79
	v_add_f32_e32 v141, v30, v80
	;; [unrolled: 1-line block ×5, first 2 shown]
	v_mul_f32_e32 v36, 0xbf6f5d39, v51
	v_add_f32_e32 v102, v83, v15
	v_sub_f32_e32 v103, v21, v88
	v_mul_f32_e32 v117, 0xbf6f5d39, v101
	v_fmamk_f32 v135, v100, 0x3df6dbef, v116
	v_add_f32_e32 v142, v30, v47
	v_add_f32_e32 v143, v30, v91
	;; [unrolled: 1-line block ×35, first 2 shown]
	v_mul_f32_e32 v39, 0xbe750f2a, v51
	v_fmamk_f32 v107, v98, 0xbeb58ec6, v36
	v_mul_f32_e32 v108, 0xbe750f2a, v99
	v_add_f32_e32 v104, v82, v13
	v_sub_f32_e32 v105, v8, v10
	v_mul_f32_e32 v118, 0xbf29c268, v103
	v_fmamk_f32 v136, v102, 0xbeb58ec6, v117
	v_add_f32_e32 v72, v109, v129
	v_add_f32_e32 v33, v135, v33
	;; [unrolled: 1-line block ×12, first 2 shown]
	v_lshl_add_u32 v4, v110, 2, 0
	v_fmamk_f32 v109, v98, 0xbf788fa5, v39
	v_mul_f32_e32 v110, 0x3f6f5d39, v99
	v_add_f32_e32 v107, v107, v141
	v_fmamk_f32 v111, v100, 0xbf788fa5, v108
	v_mul_f32_e32 v112, 0x3f29c268, v101
	v_add_f32_e32 v106, v9, v11
	v_mul_f32_e32 v119, 0xbe750f2a, v105
	v_fmamk_f32 v137, v104, 0xbf3f9e67, v118
	v_add_f32_e32 v33, v136, v33
	v_add_f32_e32 v109, v109, v143
	v_fmamk_f32 v113, v100, 0xbeb58ec6, v110
	v_mul_f32_e32 v114, 0x3eedf032, v101
	v_add_f32_e32 v107, v111, v107
	v_fmamk_f32 v111, v102, 0xbf3f9e67, v112
	v_mul_f32_e32 v123, 0x3f7e222b, v103
	v_fmamk_f32 v138, v106, 0xbf788fa5, v119
	v_add_f32_e32 v33, v137, v33
	v_add_f32_e32 v109, v113, v109
	v_fmamk_f32 v113, v102, 0x3f62ad3f, v114
	v_add_f32_e32 v107, v111, v107
	v_fmamk_f32 v111, v104, 0x3df6dbef, v123
	v_mul_f32_e32 v124, 0xbf52af12, v103
	v_mul_f32_e32 v125, 0x3eedf032, v105
	v_add_f32_e32 v33, v138, v33
	v_add_f32_e32 v109, v113, v109
	;; [unrolled: 1-line block ×3, first 2 shown]
	v_fmamk_f32 v111, v104, 0x3f116cb1, v124
	v_fmamk_f32 v113, v106, 0x3f62ad3f, v125
	v_mul_f32_e32 v126, 0x3f29c268, v51
	v_mul_f32_e32 v127, 0x3f7e222b, v51
	ds_write2_b32 v4, v37, v33 offset1:2
	v_add_f32_e32 v33, v111, v109
	v_add_f32_e32 v37, v113, v107
	v_fmamk_f32 v107, v98, 0xbf3f9e67, v126
	v_fmamk_f32 v109, v98, 0x3df6dbef, v127
	v_mul_f32_e32 v111, 0x3eedf032, v99
	v_mul_f32_e32 v113, 0xbf52af12, v99
	;; [unrolled: 1-line block ×3, first 2 shown]
	v_add_f32_e32 v107, v107, v145
	v_add_f32_e32 v109, v109, v147
	v_fmamk_f32 v129, v100, 0x3f62ad3f, v111
	v_fmamk_f32 v130, v100, 0x3f116cb1, v113
	v_mul_f32_e32 v131, 0xbf7e222b, v101
	v_mul_f32_e32 v132, 0x3e750f2a, v101
	v_fmamk_f32 v133, v106, 0xbf3f9e67, v128
	v_add_f32_e32 v107, v129, v107
	v_add_f32_e32 v109, v130, v109
	v_fmamk_f32 v129, v102, 0x3df6dbef, v131
	v_fmamk_f32 v130, v102, 0xbf788fa5, v132
	v_mul_f32_e32 v134, 0x3e750f2a, v103
	v_mul_f32_e32 v135, 0x3eedf032, v103
	v_add_f32_e32 v33, v133, v33
	v_add_f32_e32 v107, v129, v107
	;; [unrolled: 1-line block ×3, first 2 shown]
	v_fmamk_f32 v129, v104, 0xbf788fa5, v134
	v_fmamk_f32 v130, v104, 0x3f62ad3f, v135
	v_mul_f32_e32 v51, 0x3eedf032, v51
	ds_write2_b32 v4, v37, v33 offset0:4 offset1:6
	v_mul_f32_e32 v99, 0xbf29c268, v99
	v_add_f32_e32 v37, v129, v107
	v_add_f32_e32 v107, v130, v109
	v_fmamk_f32 v109, v98, 0x3f62ad3f, v51
	v_fma_f32 v51, 0x3f62ad3f, v98, -v51
	v_fmamk_f32 v133, v100, 0xbf3f9e67, v99
	v_mul_f32_e32 v101, 0x3f52af12, v101
	v_fma_f32 v99, 0xbf3f9e67, v100, -v99
	v_add_f32_e32 v109, v109, v149
	v_add_f32_e32 v51, v51, v150
	v_mul_f32_e32 v103, 0xbf6f5d39, v103
	v_mul_f32_e32 v33, 0x3f52af12, v105
	;; [unrolled: 1-line block ×3, first 2 shown]
	v_add_f32_e32 v109, v133, v109
	v_fmamk_f32 v133, v102, 0x3f116cb1, v101
	v_add_f32_e32 v51, v99, v51
	v_fma_f32 v99, 0x3f116cb1, v102, -v101
	v_mul_f32_e32 v105, 0x3f7e222b, v105
	v_fmamk_f32 v129, v106, 0x3f116cb1, v33
	v_add_f32_e32 v101, v133, v109
	v_fmamk_f32 v109, v104, 0xbeb58ec6, v103
	v_add_f32_e32 v51, v99, v51
	v_fma_f32 v99, 0xbeb58ec6, v104, -v103
	v_fma_f32 v103, 0xbf3f9e67, v98, -v126
	v_fmamk_f32 v136, v106, 0xbeb58ec6, v130
	v_add_f32_e32 v101, v109, v101
	v_fma_f32 v109, 0x3df6dbef, v98, -v127
	v_add_f32_e32 v51, v99, v51
	v_add_f32_e32 v99, v103, v146
	v_fma_f32 v103, 0x3f62ad3f, v100, -v111
	v_fmamk_f32 v111, v106, 0x3df6dbef, v105
	v_add_f32_e32 v109, v109, v148
	v_fma_f32 v113, 0x3f116cb1, v100, -v113
	v_add_f32_e32 v37, v129, v37
	v_add_f32_e32 v107, v136, v107
	v_fma_f32 v105, 0x3df6dbef, v106, -v105
	v_add_f32_e32 v99, v103, v99
	v_fma_f32 v103, 0x3df6dbef, v102, -v131
	v_add_f32_e32 v101, v111, v101
	v_add_f32_e32 v109, v113, v109
	v_fma_f32 v111, 0xbf788fa5, v102, -v132
	v_add_f32_e32 v51, v105, v51
	v_add_f32_e32 v99, v103, v99
	v_fma_f32 v103, 0xbf788fa5, v104, -v134
	ds_write2_b32 v4, v37, v107 offset0:8 offset1:10
	v_add_f32_e32 v37, v111, v109
	v_fma_f32 v105, 0x3f62ad3f, v104, -v135
	ds_write2_b32 v4, v101, v51 offset0:12 offset1:14
	v_add_f32_e32 v51, v103, v99
	v_fma_f32 v33, 0x3f116cb1, v106, -v33
	v_fma_f32 v99, 0xbeb58ec6, v106, -v130
	v_add_f32_e32 v37, v105, v37
	v_add_f32_e32 v35, v35, v68
	v_fma_f32 v36, 0xbeb58ec6, v98, -v36
	v_add_f32_e32 v33, v33, v51
	v_fma_f32 v39, 0xbf788fa5, v98, -v39
	;; [unrolled: 2-line block ×4, first 2 shown]
	v_add_f32_e32 v39, v39, v144
	ds_write2_b32 v4, v37, v33 offset0:16 offset1:18
	v_add_f32_e32 v33, v35, v64
	v_add_f32_e32 v36, v51, v36
	v_fma_f32 v51, 0xbf3f9e67, v102, -v112
	v_add_f32_e32 v35, v99, v39
	v_fma_f32 v37, 0x3f62ad3f, v102, -v114
	;; [unrolled: 2-line block ×4, first 2 shown]
	v_add_f32_e32 v35, v37, v35
	v_add_f32_e32 v33, v33, v5
	v_fma_f32 v37, 0x3f116cb1, v104, -v124
	v_add_f32_e32 v36, v39, v36
	v_add_f32_e32 v39, v51, v140
	v_fma_f32 v51, 0x3df6dbef, v100, -v116
	;; [unrolled: 3-line block ×3, first 2 shown]
	v_fma_f32 v98, 0xbf3f9e67, v106, -v128
	v_add_f32_e32 v39, v51, v39
	v_add_f32_e32 v33, v33, v3
	v_fma_f32 v51, 0xbeb58ec6, v102, -v117
	v_add_f32_e32 v36, v37, v36
	v_add_f32_e32 v35, v98, v35
	v_sub_f32_e32 v37, v52, v44
	v_add_f32_e32 v33, v33, v7
	v_add_f32_e32 v39, v51, v39
	v_fma_f32 v51, 0xbf3f9e67, v104, -v118
	v_add_f32_e32 v98, v68, v70
	v_mul_f32_e32 v99, 0xbf52af12, v37
	ds_write2_b32 v4, v35, v36 offset0:20 offset1:22
	v_sub_f32_e32 v35, v50, v42
	v_add_f32_e32 v33, v33, v62
	v_add_f32_e32 v36, v51, v39
	v_fmamk_f32 v39, v98, 0x3f116cb1, v99
	v_add_f32_e32 v100, v64, v66
	v_mul_f32_e32 v101, 0xbf7e222b, v35
	v_sub_f32_e32 v102, v48, v41
	v_add_f32_e32 v33, v33, v66
	v_fma_f32 v51, 0xbf788fa5, v106, -v119
	v_add_f32_e32 v39, v39, v151
	v_fmamk_f32 v103, v100, 0x3df6dbef, v101
	v_add_f32_e32 v104, v60, v62
	v_mul_f32_e32 v105, 0xbf6f5d39, v102
	v_sub_f32_e32 v106, v6, v40
	v_add_f32_e32 v33, v33, v70
	v_add_f32_e32 v36, v51, v36
	;; [unrolled: 1-line block ×3, first 2 shown]
	v_fmamk_f32 v51, v104, 0xbeb58ec6, v105
	v_add_f32_e32 v103, v5, v7
	v_mul_f32_e32 v107, 0xbf29c268, v106
	v_lshrrev_b32_e32 v108, 1, v77
	v_add_f32_e32 v33, v33, v97
	v_sub_f32_e32 v97, v0, v2
	v_add_f32_e32 v39, v51, v39
	v_fmamk_f32 v51, v103, 0xbf3f9e67, v107
	v_mul_u32_u24_e32 v108, 26, v108
	v_add_f32_e32 v109, v1, v3
	v_mul_f32_e32 v110, 0xbe750f2a, v97
	v_mul_f32_e32 v111, 0xbf6f5d39, v37
	;; [unrolled: 1-line block ×3, first 2 shown]
	v_add_f32_e32 v39, v51, v39
	v_or_b32_e32 v51, v108, v58
	v_fmamk_f32 v58, v109, 0xbf788fa5, v110
	v_fmamk_f32 v108, v98, 0xbeb58ec6, v111
	;; [unrolled: 1-line block ×3, first 2 shown]
	v_mul_f32_e32 v114, 0xbe750f2a, v35
	v_mul_f32_e32 v115, 0x3f6f5d39, v35
	v_add_f32_e32 v39, v58, v39
	v_add_f32_e32 v58, v108, v152
	;; [unrolled: 1-line block ×3, first 2 shown]
	v_fmamk_f32 v113, v100, 0xbf788fa5, v114
	v_fmamk_f32 v116, v100, 0xbeb58ec6, v115
	v_mul_f32_e32 v117, 0x3f29c268, v102
	v_mul_f32_e32 v118, 0x3eedf032, v102
	ds_write_b32 v4, v36 offset:96
	v_add_f32_e32 v36, v113, v58
	v_add_f32_e32 v58, v116, v108
	v_fmamk_f32 v108, v104, 0xbf3f9e67, v117
	v_fmamk_f32 v113, v104, 0x3f62ad3f, v118
	v_mul_f32_e32 v116, 0x3f7e222b, v106
	v_lshl_add_u32 v51, v51, 2, 0
	v_mul_f32_e32 v119, 0xbf52af12, v106
	v_add_f32_e32 v36, v108, v36
	v_add_f32_e32 v58, v113, v58
	v_fmamk_f32 v108, v103, 0x3df6dbef, v116
	v_mul_f32_e32 v113, 0x3eedf032, v97
	v_fmamk_f32 v123, v103, 0x3f116cb1, v119
	v_mul_f32_e32 v124, 0x3f29c268, v37
	ds_write2_b32 v51, v33, v39 offset1:2
	v_add_f32_e32 v33, v108, v36
	v_fmamk_f32 v36, v109, 0x3f62ad3f, v113
	v_add_f32_e32 v39, v123, v58
	v_fmamk_f32 v58, v98, 0xbf3f9e67, v124
	v_mul_f32_e32 v108, 0x3f7e222b, v37
	v_mul_f32_e32 v123, 0x3eedf032, v35
	v_add_f32_e32 v33, v36, v33
	v_mul_f32_e32 v36, 0xbf29c268, v97
	v_add_f32_e32 v58, v58, v120
	v_fmamk_f32 v120, v98, 0x3df6dbef, v108
	v_mul_f32_e32 v126, 0xbf52af12, v35
	v_fmamk_f32 v125, v100, 0x3f62ad3f, v123
	v_fmamk_f32 v128, v109, 0xbf3f9e67, v36
	v_mul_f32_e32 v127, 0xbf7e222b, v102
	v_add_f32_e32 v120, v120, v121
	v_fmamk_f32 v121, v100, 0x3f116cb1, v126
	v_mul_f32_e32 v129, 0x3e750f2a, v102
	v_add_f32_e32 v39, v128, v39
	v_add_f32_e32 v58, v125, v58
	v_fmamk_f32 v125, v104, 0x3df6dbef, v127
	v_add_f32_e32 v120, v121, v120
	v_fmamk_f32 v121, v104, 0xbf788fa5, v129
	ds_write2_b32 v51, v33, v39 offset0:4 offset1:6
	v_mul_f32_e32 v33, 0x3eedf032, v37
	v_mul_f32_e32 v128, 0x3e750f2a, v106
	v_add_f32_e32 v58, v125, v58
	v_mul_f32_e32 v125, 0x3eedf032, v106
	v_add_f32_e32 v37, v121, v120
	v_fmamk_f32 v121, v98, 0x3f62ad3f, v33
	v_mul_f32_e32 v35, 0xbf29c268, v35
	v_fma_f32 v33, 0x3f62ad3f, v98, -v33
	v_fmamk_f32 v130, v103, 0xbf788fa5, v128
	v_fmamk_f32 v39, v103, 0x3f62ad3f, v125
	v_mul_f32_e32 v120, 0x3f52af12, v97
	v_add_f32_e32 v121, v121, v122
	v_fmamk_f32 v122, v100, 0xbf3f9e67, v35
	v_mul_f32_e32 v102, 0x3f52af12, v102
	v_add_f32_e32 v31, v33, v31
	v_fma_f32 v33, 0xbf3f9e67, v100, -v35
	v_add_f32_e32 v58, v130, v58
	v_add_f32_e32 v37, v39, v37
	v_fmamk_f32 v39, v109, 0x3f116cb1, v120
	v_add_f32_e32 v121, v122, v121
	v_fmamk_f32 v122, v104, 0x3f116cb1, v102
	v_mul_f32_e32 v106, 0xbf6f5d39, v106
	v_add_f32_e32 v31, v33, v31
	v_fma_f32 v33, 0x3f116cb1, v104, -v102
	v_add_f32_e32 v39, v39, v58
	v_add_f32_e32 v58, v122, v121
	v_fmamk_f32 v102, v103, 0xbeb58ec6, v106
	v_fma_f32 v108, 0x3df6dbef, v98, -v108
	v_add_f32_e32 v31, v33, v31
	v_fma_f32 v33, 0xbf3f9e67, v98, -v124
	v_mul_f32_e32 v35, 0xbf6f5d39, v97
	v_add_f32_e32 v58, v102, v58
	v_fma_f32 v102, 0xbeb58ec6, v103, -v106
	v_mul_f32_e32 v97, 0x3f7e222b, v97
	v_add_f32_e32 v33, v33, v154
	v_add_f32_e32 v34, v108, v34
	v_fma_f32 v106, 0x3f62ad3f, v100, -v123
	v_fma_f32 v108, 0x3f116cb1, v100, -v126
	v_add_f32_e32 v31, v102, v31
	v_fmamk_f32 v102, v109, 0x3df6dbef, v97
	v_fma_f32 v97, 0x3df6dbef, v109, -v97
	v_add_f32_e32 v33, v106, v33
	v_add_f32_e32 v34, v108, v34
	v_fma_f32 v106, 0x3df6dbef, v104, -v127
	v_fma_f32 v108, 0xbf788fa5, v104, -v129
	v_add_f32_e32 v58, v102, v58
	v_add_f32_e32 v31, v97, v31
	v_fma_f32 v97, 0xbf788fa5, v103, -v128
	v_add_f32_e32 v33, v106, v33
	v_add_f32_e32 v34, v108, v34
	v_fma_f32 v102, 0x3f62ad3f, v103, -v125
	ds_write2_b32 v51, v58, v31 offset0:12 offset1:14
	v_add_f32_e32 v18, v18, v90
	v_add_f32_e32 v31, v97, v33
	v_fmamk_f32 v121, v109, 0xbeb58ec6, v35
	v_add_f32_e32 v33, v102, v34
	v_fma_f32 v34, 0xbf788fa5, v98, -v112
	v_add_f32_e32 v18, v18, v89
	v_add_f32_e32 v58, v90, v14
	;; [unrolled: 1-line block ×3, first 2 shown]
	v_sub_f32_e32 v85, v85, v19
	v_add_f32_e32 v30, v34, v30
	v_fma_f32 v34, 0xbeb58ec6, v100, -v115
	v_add_f32_e32 v18, v18, v23
	ds_write2_b32 v51, v39, v37 offset0:8 offset1:10
	v_fma_f32 v37, 0xbeb58ec6, v98, -v111
	v_mul_f32_e32 v90, 0x3f116cb1, v58
	v_add_f32_e32 v30, v34, v30
	v_fma_f32 v34, 0x3f62ad3f, v104, -v118
	v_add_f32_e32 v18, v18, v21
	v_add_f32_e32 v89, v89, v16
	;; [unrolled: 1-line block ×3, first 2 shown]
	v_fma_f32 v37, 0xbf788fa5, v100, -v114
	v_add_f32_e32 v30, v34, v30
	v_fma_f32 v34, 0x3f116cb1, v103, -v119
	v_add_f32_e32 v18, v18, v8
	v_sub_f32_e32 v84, v84, v17
	v_mul_f32_e32 v97, 0x3df6dbef, v89
	v_add_f32_e32 v32, v37, v32
	v_add_f32_e32 v30, v34, v30
	v_fma_f32 v34, 0x3f116cb1, v98, -v99
	v_add_f32_e32 v18, v18, v10
	v_add_f32_e32 v98, v23, v38
	v_fma_f32 v37, 0xbf3f9e67, v104, -v117
	v_fma_f32 v17, 0x3df6dbef, v100, -v101
	v_add_f32_e32 v20, v34, v20
	v_fmamk_f32 v34, v85, 0x3f52af12, v90
	v_add_f32_e32 v18, v18, v88
	v_fmamk_f32 v23, v84, 0x3f7e222b, v97
	v_sub_f32_e32 v83, v83, v15
	v_mul_f32_e32 v99, 0xbeb58ec6, v98
	v_add_f32_e32 v22, v34, v22
	v_add_f32_e32 v88, v21, v88
	;; [unrolled: 1-line block ×3, first 2 shown]
	v_fma_f32 v37, 0x3df6dbef, v103, -v116
	v_add_f32_e32 v18, v18, v38
	v_add_f32_e32 v17, v17, v20
	v_fma_f32 v20, 0xbeb58ec6, v104, -v105
	v_add_f32_e32 v15, v23, v22
	v_fmamk_f32 v21, v83, 0x3f6f5d39, v99
	v_sub_f32_e32 v82, v82, v13
	v_mul_f32_e32 v100, 0xbf3f9e67, v88
	v_add_f32_e32 v101, v8, v10
	v_mul_f32_e32 v106, 0xbeb58ec6, v58
	v_fma_f32 v39, 0x3f116cb1, v109, -v120
	v_fma_f32 v35, 0xbeb58ec6, v109, -v35
	v_add_f32_e32 v32, v37, v32
	v_fma_f32 v37, 0x3f62ad3f, v109, -v113
	v_fma_f32 v19, 0xbf3f9e67, v109, -v36
	v_add_f32_e32 v17, v20, v17
	v_fma_f32 v20, 0xbf3f9e67, v103, -v107
	v_add_f32_e32 v13, v18, v16
	v_add_f32_e32 v8, v21, v15
	v_fmamk_f32 v15, v82, 0x3f29c268, v100
	v_sub_f32_e32 v102, v9, v11
	v_mul_f32_e32 v103, 0xbf788fa5, v101
	v_fma_f32 v9, 0xbf788fa5, v109, -v110
	v_fmamk_f32 v107, v85, 0x3f6f5d39, v106
	v_mul_f32_e32 v109, 0xbf788fa5, v89
	v_add_f32_e32 v10, v20, v17
	v_add_f32_e32 v13, v13, v14
	;; [unrolled: 1-line block ×3, first 2 shown]
	v_fmamk_f32 v14, v102, 0x3e750f2a, v103
	v_mul_f32_e32 v108, 0xbf788fa5, v58
	v_add_f32_e32 v96, v107, v96
	v_fmamk_f32 v110, v84, 0x3e750f2a, v109
	v_mul_f32_e32 v112, 0xbf3f9e67, v98
	v_add_f32_e32 v31, v39, v31
	v_add_f32_e32 v33, v35, v33
	;; [unrolled: 1-line block ×5, first 2 shown]
	v_fmamk_f32 v107, v85, 0x3e750f2a, v108
	v_mul_f32_e32 v111, 0xbeb58ec6, v89
	v_add_f32_e32 v96, v110, v96
	v_fmamk_f32 v110, v83, 0xbf29c268, v112
	v_mul_f32_e32 v114, 0x3df6dbef, v88
	v_add_f32_e32 v32, v37, v32
	v_add_f32_e32 v11, v19, v30
	ds_write2_b32 v51, v33, v31 offset0:16 offset1:18
	ds_write2_b32 v51, v11, v32 offset0:20 offset1:22
	ds_write_b32 v51, v9 offset:96
	s_waitcnt lgkmcnt(0)
	s_barrier
	buffer_gl0_inv
	ds_read2_b32 v[8:9], v61 offset1:52
	ds_read2_b32 v[38:39], v61 offset0:104 offset1:156
	ds_read2_b32 v[36:37], v63 offset0:80 offset1:132
	;; [unrolled: 1-line block ×12, first 2 shown]
	s_waitcnt lgkmcnt(0)
	s_barrier
	buffer_gl0_inv
	v_add_f32_e32 v95, v107, v95
	v_fmamk_f32 v107, v84, 0xbf6f5d39, v111
	v_mul_f32_e32 v113, 0x3f62ad3f, v98
	ds_write2_b32 v4, v104, v105 offset1:2
	v_add_f32_e32 v96, v110, v96
	v_fmamk_f32 v105, v82, 0xbf7e222b, v114
	v_mul_f32_e32 v110, 0x3f62ad3f, v101
	v_mul_f32_e32 v115, 0xbf3f9e67, v58
	v_add_f32_e32 v95, v107, v95
	v_fmamk_f32 v104, v83, 0xbeedf032, v113
	v_mul_f32_e32 v107, 0x3f116cb1, v88
	v_add_f32_e32 v96, v105, v96
	v_fmamk_f32 v105, v102, 0xbeedf032, v110
	v_fmamk_f32 v116, v85, 0xbf29c268, v115
	v_mul_f32_e32 v118, 0x3f62ad3f, v89
	v_add_f32_e32 v95, v104, v95
	v_fmamk_f32 v104, v82, 0x3f52af12, v107
	v_mul_f32_e32 v117, 0x3df6dbef, v58
	v_add_f32_e32 v96, v105, v96
	v_add_f32_e32 v94, v116, v94
	v_fmamk_f32 v105, v84, 0xbeedf032, v118
	v_mul_f32_e32 v119, 0x3df6dbef, v98
	v_add_f32_e32 v95, v104, v95
	v_fmamk_f32 v104, v85, 0xbf7e222b, v117
	v_mul_f32_e32 v116, 0x3f116cb1, v89
	;; [unrolled: 3-line block ×3, first 2 shown]
	v_mul_f32_e32 v120, 0xbf3f9e67, v101
	v_add_f32_e32 v93, v104, v93
	v_fmamk_f32 v104, v84, 0x3f52af12, v116
	v_mul_f32_e32 v121, 0xbf788fa5, v98
	v_add_f32_e32 v94, v105, v94
	v_fmamk_f32 v124, v82, 0xbe750f2a, v123
	v_mul_f32_e32 v58, 0x3f62ad3f, v58
	v_fmamk_f32 v122, v102, 0x3f29c268, v120
	v_add_f32_e32 v93, v104, v93
	v_fmamk_f32 v104, v83, 0xbe750f2a, v121
	v_mul_f32_e32 v105, 0x3f62ad3f, v88
	v_add_f32_e32 v94, v124, v94
	v_fmamk_f32 v124, v85, 0xbeedf032, v58
	v_mul_f32_e32 v89, 0xbf3f9e67, v89
	v_add_f32_e32 v45, v45, v52
	v_add_f32_e32 v95, v122, v95
	;; [unrolled: 1-line block ×3, first 2 shown]
	v_fmamk_f32 v104, v82, 0xbeedf032, v105
	v_mul_f32_e32 v122, 0x3f116cb1, v101
	v_fmac_f32_e32 v58, 0x3eedf032, v85
	v_add_f32_e32 v92, v124, v92
	v_fmamk_f32 v124, v84, 0x3f29c268, v89
	v_mul_f32_e32 v98, 0x3f116cb1, v98
	v_add_f32_e32 v45, v45, v50
	v_add_f32_e32 v93, v104, v93
	v_fmamk_f32 v104, v102, 0xbf52af12, v122
	v_add_f32_e32 v58, v58, v91
	v_fmac_f32_e32 v89, 0xbf29c268, v84
	v_add_f32_e32 v92, v124, v92
	v_fmamk_f32 v124, v83, 0xbf52af12, v98
	v_mul_f32_e32 v88, 0xbeb58ec6, v88
	v_fmac_f32_e32 v115, 0x3f29c268, v85
	v_fmac_f32_e32 v117, 0x3f7e222b, v85
	v_add_f32_e32 v45, v45, v48
	v_add_f32_e32 v58, v89, v58
	v_fmac_f32_e32 v98, 0x3f52af12, v83
	v_add_f32_e32 v89, v104, v94
	v_add_f32_e32 v92, v124, v92
	v_fmamk_f32 v94, v82, 0x3f6f5d39, v88
	v_add_f32_e32 v86, v115, v86
	v_add_f32_e32 v87, v117, v87
	v_fmac_f32_e32 v118, 0x3eedf032, v84
	v_fmac_f32_e32 v116, 0xbf52af12, v84
	v_add_f32_e32 v45, v45, v6
	v_mul_f32_e32 v91, 0xbeb58ec6, v101
	v_add_f32_e32 v58, v98, v58
	v_add_f32_e32 v92, v94, v92
	v_fmac_f32_e32 v88, 0xbf6f5d39, v82
	v_mul_f32_e32 v94, 0x3df6dbef, v101
	v_add_f32_e32 v86, v118, v86
	v_add_f32_e32 v87, v116, v87
	v_fmac_f32_e32 v119, 0xbf7e222b, v83
	v_fmac_f32_e32 v121, 0x3e750f2a, v83
	;; [unrolled: 1-line block ×4, first 2 shown]
	v_add_f32_e32 v45, v45, v0
	v_fmamk_f32 v104, v102, 0x3f6f5d39, v91
	v_add_f32_e32 v58, v88, v58
	v_fmamk_f32 v88, v102, 0xbf7e222b, v94
	v_fmac_f32_e32 v94, 0x3f7e222b, v102
	v_add_f32_e32 v86, v119, v86
	v_add_f32_e32 v87, v121, v87
	v_fmac_f32_e32 v123, 0x3e750f2a, v82
	v_fmac_f32_e32 v105, 0x3eedf032, v82
	;; [unrolled: 1-line block ×3, first 2 shown]
	v_add_f32_e32 v79, v90, v79
	v_add_f32_e32 v80, v106, v80
	v_fmac_f32_e32 v97, 0xbf7e222b, v84
	v_fmac_f32_e32 v109, 0xbe750f2a, v84
	v_add_f32_e32 v45, v45, v2
	v_add_f32_e32 v93, v104, v93
	;; [unrolled: 1-line block ×4, first 2 shown]
	ds_write2_b32 v4, v96, v95 offset0:4 offset1:6
	ds_write2_b32 v4, v89, v93 offset0:8 offset1:10
	ds_write2_b32 v4, v88, v58 offset0:12 offset1:14
	v_add_f32_e32 v58, v123, v86
	v_add_f32_e32 v86, v105, v87
	v_fmac_f32_e32 v122, 0x3f52af12, v102
	v_add_f32_e32 v81, v108, v81
	v_fmac_f32_e32 v111, 0x3f6f5d39, v84
	v_fmac_f32_e32 v91, 0xbf6f5d39, v102
	v_add_f32_e32 v79, v97, v79
	v_add_f32_e32 v80, v109, v80
	v_fmac_f32_e32 v99, 0xbf6f5d39, v83
	v_fmac_f32_e32 v112, 0x3f29c268, v83
	v_add_f32_e32 v45, v45, v40
	v_add_f32_e32 v58, v122, v58
	;; [unrolled: 1-line block ×3, first 2 shown]
	v_fmac_f32_e32 v113, 0x3eedf032, v83
	v_add_f32_e32 v83, v91, v86
	v_add_f32_e32 v79, v99, v79
	v_add_f32_e32 v80, v112, v80
	v_fmac_f32_e32 v100, 0xbf29c268, v82
	v_fmac_f32_e32 v114, 0x3f7e222b, v82
	v_add_f32_e32 v45, v45, v41
	v_add_f32_e32 v52, v52, v44
	;; [unrolled: 1-line block ×3, first 2 shown]
	v_fmac_f32_e32 v107, 0xbf52af12, v82
	ds_write2_b32 v4, v83, v58 offset0:16 offset1:18
	v_add_f32_e32 v58, v100, v79
	v_add_f32_e32 v79, v114, v80
	v_fmac_f32_e32 v103, 0xbe750f2a, v102
	v_fmac_f32_e32 v110, 0x3eedf032, v102
	v_add_f32_e32 v45, v45, v42
	v_sub_f32_e32 v68, v68, v70
	v_mul_f32_e32 v70, 0x3f116cb1, v52
	v_add_f32_e32 v80, v107, v81
	v_add_f32_e32 v81, v103, v58
	;; [unrolled: 1-line block ×4, first 2 shown]
	v_fmamk_f32 v58, v68, 0x3f52af12, v70
	v_mul_f32_e32 v79, 0xbeb58ec6, v52
	v_fmac_f32_e32 v70, 0xbf52af12, v68
	v_add_f32_e32 v43, v44, v43
	v_add_f32_e32 v42, v50, v42
	;; [unrolled: 1-line block ×3, first 2 shown]
	v_fmamk_f32 v58, v68, 0x3f6f5d39, v79
	v_mul_f32_e32 v78, 0xbf788fa5, v52
	v_add_f32_e32 v70, v70, v76
	v_fmac_f32_e32 v79, 0xbf6f5d39, v68
	v_mul_f32_e32 v76, 0xbf3f9e67, v52
	v_add_f32_e32 v58, v58, v72
	v_fmamk_f32 v72, v68, 0x3e750f2a, v78
	v_mul_f32_e32 v50, 0x3f62ad3f, v52
	v_add_f32_e32 v74, v79, v74
	v_fmamk_f32 v79, v68, 0xbf29c268, v76
	v_fmac_f32_e32 v76, 0x3f29c268, v68
	v_add_f32_e32 v54, v72, v54
	v_mul_f32_e32 v72, 0x3df6dbef, v52
	v_sub_f32_e32 v64, v64, v66
	v_mul_f32_e32 v66, 0x3df6dbef, v42
	v_fmac_f32_e32 v78, 0xbe750f2a, v68
	v_add_f32_e32 v57, v76, v57
	v_fmamk_f32 v52, v68, 0xbf7e222b, v72
	v_fmac_f32_e32 v72, 0x3f7e222b, v68
	v_fmamk_f32 v76, v68, 0xbeedf032, v50
	v_fmac_f32_e32 v50, 0x3eedf032, v68
	v_mul_f32_e32 v68, 0xbf788fa5, v42
	v_add_f32_e32 v49, v52, v49
	v_add_f32_e32 v52, v72, v53
	v_fmamk_f32 v53, v64, 0x3f7e222b, v66
	v_add_f32_e32 v46, v50, v46
	v_fmamk_f32 v50, v64, 0x3e750f2a, v68
	v_add_f32_e32 v55, v78, v55
	v_fmac_f32_e32 v66, 0xbf7e222b, v64
	v_add_f32_e32 v44, v53, v44
	v_mul_f32_e32 v53, 0xbeb58ec6, v42
	v_add_f32_e32 v50, v50, v58
	v_add_f32_e32 v41, v48, v41
	;; [unrolled: 1-line block ×3, first 2 shown]
	v_mul_f32_e32 v70, 0x3f62ad3f, v42
	v_fmamk_f32 v58, v64, 0xbf6f5d39, v53
	v_fmac_f32_e32 v53, 0x3f6f5d39, v64
	v_add_f32_e32 v47, v76, v47
	v_add_f32_e32 v56, v79, v56
	v_fmamk_f32 v72, v64, 0xbeedf032, v70
	v_add_f32_e32 v54, v58, v54
	v_add_f32_e32 v53, v53, v55
	v_mul_f32_e32 v55, 0x3f116cb1, v42
	v_mul_f32_e32 v42, 0xbf3f9e67, v42
	v_sub_f32_e32 v58, v60, v62
	v_mul_f32_e32 v60, 0xbeb58ec6, v41
	v_fmac_f32_e32 v70, 0x3eedf032, v64
	v_fmamk_f32 v48, v64, 0x3f52af12, v55
	v_fmac_f32_e32 v55, 0xbf52af12, v64
	v_fmamk_f32 v62, v64, 0x3f29c268, v42
	v_fmac_f32_e32 v42, 0xbf29c268, v64
	v_add_f32_e32 v6, v6, v40
	v_add_f32_e32 v48, v48, v49
	;; [unrolled: 1-line block ×3, first 2 shown]
	v_fmamk_f32 v52, v58, 0x3f6f5d39, v60
	v_mul_f32_e32 v55, 0xbf3f9e67, v41
	v_add_f32_e32 v42, v42, v46
	v_add_f32_e32 v47, v62, v47
	v_mul_f32_e32 v62, 0x3df6dbef, v41
	v_add_f32_e32 v44, v52, v44
	v_fmamk_f32 v46, v58, 0xbf29c268, v55
	v_mul_f32_e32 v52, 0x3f62ad3f, v41
	v_fmac_f32_e32 v68, 0xbe750f2a, v64
	v_add_f32_e32 v56, v72, v56
	v_add_f32_e32 v57, v70, v57
	;; [unrolled: 1-line block ×3, first 2 shown]
	v_fmamk_f32 v50, v58, 0xbeedf032, v52
	v_fmac_f32_e32 v52, 0x3eedf032, v58
	v_fmamk_f32 v64, v58, 0x3f7e222b, v62
	v_fmac_f32_e32 v62, 0xbf7e222b, v58
	v_mul_f32_e32 v40, 0x3f116cb1, v41
	v_sub_f32_e32 v5, v5, v7
	v_add_f32_e32 v52, v52, v53
	v_mul_f32_e32 v53, 0xbf788fa5, v41
	v_mul_f32_e32 v7, 0xbf3f9e67, v6
	v_add_f32_e32 v50, v50, v54
	v_add_f32_e32 v54, v64, v56
	;; [unrolled: 1-line block ×3, first 2 shown]
	v_fmamk_f32 v41, v58, 0xbe750f2a, v53
	v_fmac_f32_e32 v53, 0x3e750f2a, v58
	v_fmamk_f32 v57, v58, 0xbf52af12, v40
	v_fmac_f32_e32 v40, 0x3f52af12, v58
	v_add_f32_e32 v68, v68, v74
	v_add_f32_e32 v41, v41, v48
	;; [unrolled: 1-line block ×3, first 2 shown]
	v_fmamk_f32 v49, v5, 0x3f29c268, v7
	v_mul_f32_e32 v53, 0x3df6dbef, v6
	v_add_f32_e32 v40, v40, v42
	v_fmac_f32_e32 v55, 0x3f29c268, v58
	v_add_f32_e32 v47, v57, v47
	v_add_f32_e32 v42, v49, v44
	v_fmamk_f32 v44, v5, 0xbf7e222b, v53
	v_mul_f32_e32 v49, 0x3f116cb1, v6
	v_add_f32_e32 v55, v55, v68
	v_fmac_f32_e32 v53, 0x3f7e222b, v5
	v_mul_f32_e32 v57, 0xbf788fa5, v6
	v_add_f32_e32 v44, v44, v46
	v_fmamk_f32 v46, v5, 0x3f52af12, v49
	v_add_f32_e32 v0, v0, v2
	v_fmac_f32_e32 v60, 0xbf6f5d39, v58
	v_fmac_f32_e32 v49, 0xbf52af12, v5
	v_add_f32_e32 v53, v53, v55
	v_add_f32_e32 v46, v46, v50
	v_mul_f32_e32 v50, 0x3f62ad3f, v6
	v_fmamk_f32 v55, v5, 0xbe750f2a, v57
	v_mul_f32_e32 v2, 0xbeb58ec6, v6
	v_sub_f32_e32 v1, v1, v3
	v_mul_f32_e32 v3, 0xbf788fa5, v0
	v_fmamk_f32 v6, v5, 0xbeedf032, v50
	v_fmac_f32_e32 v50, 0x3eedf032, v5
	v_add_f32_e32 v60, v60, v66
	v_fmac_f32_e32 v7, 0xbf29c268, v5
	v_fmac_f32_e32 v57, 0x3e750f2a, v5
	v_add_f32_e32 v49, v49, v52
	v_add_f32_e32 v52, v55, v54
	v_fmamk_f32 v55, v5, 0x3f6f5d39, v2
	v_fmac_f32_e32 v2, 0xbf6f5d39, v5
	v_add_f32_e32 v5, v6, v41
	v_add_f32_e32 v6, v50, v48
	v_fmamk_f32 v41, v1, 0x3e750f2a, v3
	v_mul_f32_e32 v48, 0x3f62ad3f, v0
	v_add_f32_e32 v7, v7, v60
	v_fmac_f32_e32 v3, 0xbe750f2a, v1
	v_add_f32_e32 v2, v2, v40
	v_add_f32_e32 v40, v41, v42
	v_fmamk_f32 v41, v1, 0xbeedf032, v48
	v_mul_f32_e32 v42, 0xbf3f9e67, v0
	v_fmac_f32_e32 v48, 0x3eedf032, v1
	v_add_f32_e32 v3, v3, v7
	v_mul_f32_e32 v7, 0x3f116cb1, v0
	v_add_f32_e32 v41, v41, v44
	v_fmamk_f32 v44, v1, 0x3f29c268, v42
	v_add_f32_e32 v48, v48, v53
	v_fmac_f32_e32 v42, 0xbf29c268, v1
	v_mul_f32_e32 v53, 0xbeb58ec6, v0
	v_fmamk_f32 v50, v1, 0xbf52af12, v7
	v_mul_f32_e32 v0, 0x3df6dbef, v0
	v_subrev_nc_u32_e32 v58, 26, v26
	v_fmac_f32_e32 v120, 0xbf29c268, v102
	v_add_f32_e32 v42, v42, v49
	v_fmamk_f32 v49, v1, 0x3f6f5d39, v53
	v_add_f32_e32 v44, v44, v46
	v_add_f32_e32 v46, v50, v52
	v_fmamk_f32 v50, v1, 0xbf7e222b, v0
	v_fmac_f32_e32 v0, 0x3f7e222b, v1
	v_cndmask_b32_e64 v64, v58, v26, s0
	v_add_f32_e32 v80, v120, v80
	v_add_f32_e32 v5, v49, v5
	v_and_b32_e32 v49, 0xff, v77
	v_fmac_f32_e32 v7, 0x3f52af12, v1
	v_fmac_f32_e32 v53, 0xbf6f5d39, v1
	v_add_f32_e32 v2, v0, v2
	v_mul_i32_i24_e32 v0, 12, v64
	v_mov_b32_e32 v1, 0
	ds_write2_b32 v4, v80, v45 offset0:20 offset1:22
	v_mul_lo_u16 v45, 0x4f, v49
	v_add_f32_e32 v47, v55, v47
	v_add_f32_e32 v54, v57, v56
	v_lshlrev_b64 v[0:1], 3, v[0:1]
	v_add_f32_e32 v6, v53, v6
	v_lshrrev_b16 v62, 11, v45
	v_add_f32_e32 v47, v50, v47
	v_add_f32_e32 v7, v7, v54
	ds_write_b32 v4, v81 offset:96
	ds_write2_b32 v51, v43, v40 offset1:2
	ds_write2_b32 v51, v41, v44 offset0:4 offset1:6
	v_add_co_u32 v0, s1, s8, v0
	ds_write2_b32 v51, v46, v5 offset0:8 offset1:10
	ds_write2_b32 v51, v47, v2 offset0:12 offset1:14
	;; [unrolled: 1-line block ×4, first 2 shown]
	v_mul_lo_u16 v2, v62, 26
	v_add_co_ci_u32_e64 v1, s1, s9, v1, s1
	ds_write_b32 v51, v3 offset:96
	s_waitcnt lgkmcnt(0)
	v_sub_nc_u16 v60, v77, v2
	v_mov_b32_e32 v2, 12
	s_barrier
	buffer_gl0_inv
	global_load_dwordx4 v[40:43], v[0:1], off offset:192
	v_cmp_lt_u32_e64 s1, 25, v26
	v_mul_u32_u24_sdwa v2, v60, v2 dst_sel:DWORD dst_unused:UNUSED_PAD src0_sel:BYTE_0 src1_sel:DWORD
	v_lshlrev_b32_e32 v2, 3, v2
	s_clause 0xa
	global_load_dwordx4 v[45:48], v2, s[8:9] offset:192
	global_load_dwordx4 v[52:55], v[0:1], off offset:208
	global_load_dwordx4 v[86:89], v2, s[8:9] offset:208
	global_load_dwordx4 v[90:93], v[0:1], off offset:224
	;; [unrolled: 2-line block ×5, first 2 shown]
	global_load_dwordx4 v[0:3], v2, s[8:9] offset:272
	ds_read2_b32 v[50:51], v61 offset0:104 offset1:156
	ds_read2_b32 v[56:57], v63 offset0:80 offset1:132
	ds_read2_b32 v[78:79], v67 offset0:56 offset1:108
	ds_read2_b32 v[114:115], v67 offset0:160 offset1:212
	s_waitcnt vmcnt(11) lgkmcnt(3)
	v_mul_f32_e32 v84, v50, v41
	v_mul_f32_e32 v41, v38, v41
	s_waitcnt lgkmcnt(2)
	v_mul_f32_e32 v81, v56, v43
	v_mul_f32_e32 v43, v36, v43
	s_waitcnt vmcnt(9) lgkmcnt(1)
	v_mul_f32_e32 v76, v78, v53
	v_fmac_f32_e32 v84, v38, v40
	v_fma_f32 v85, v50, v40, -v41
	v_mul_f32_e32 v50, v51, v46
	v_fmac_f32_e32 v81, v36, v42
	v_fma_f32 v82, v56, v42, -v43
	v_mul_f32_e32 v36, v39, v46
	v_mul_f32_e32 v46, v57, v48
	v_fmac_f32_e32 v50, v39, v45
	ds_read2_b32 v[38:39], v65 offset0:8 offset1:60
	s_waitcnt lgkmcnt(1)
	v_mul_f32_e32 v72, v114, v55
	s_waitcnt vmcnt(8)
	v_mul_f32_e32 v43, v79, v87
	v_mul_f32_e32 v40, v37, v48
	v_fma_f32 v51, v51, v45, -v36
	v_fmac_f32_e32 v46, v37, v47
	v_mul_f32_e32 v36, v34, v53
	v_mul_f32_e32 v37, v32, v55
	v_fmac_f32_e32 v76, v34, v52
	v_fmac_f32_e32 v72, v32, v54
	v_mul_f32_e32 v32, v35, v87
	v_fmac_f32_e32 v43, v35, v86
	ds_read2_b32 v[34:35], v75 offset0:88 offset1:140
	ds_read2_b32 v[48:49], v65 offset0:112 offset1:164
	v_fma_f32 v78, v78, v52, -v36
	v_fma_f32 v45, v79, v86, -v32
	ds_read2_b32 v[79:80], v69 offset0:64 offset1:116
	v_mul_f32_e32 v36, v33, v89
	s_waitcnt vmcnt(7)
	v_mul_f32_e32 v32, v30, v91
	v_fma_f32 v47, v57, v47, -v40
	s_waitcnt lgkmcnt(3)
	v_mul_f32_e32 v56, v38, v91
	v_fma_f32 v74, v114, v54, -v37
	v_mul_f32_e32 v40, v115, v89
	v_fma_f32 v41, v115, v88, -v36
	s_waitcnt vmcnt(6)
	v_mul_f32_e32 v36, v39, v95
	v_fmac_f32_e32 v56, v30, v90
	v_mul_f32_e32 v30, v22, v93
	v_fma_f32 v57, v38, v90, -v32
	s_waitcnt vmcnt(5)
	v_mul_f32_e32 v38, v20, v99
	v_fmac_f32_e32 v40, v33, v88
	v_mul_f32_e32 v33, v31, v95
	v_fmac_f32_e32 v36, v31, v94
	s_waitcnt lgkmcnt(2)
	v_mul_f32_e32 v54, v34, v99
	s_waitcnt lgkmcnt(1)
	v_fma_f32 v53, v48, v92, -v30
	ds_read2_b32 v[30:31], v69 offset0:168 offset1:220
	v_fma_f32 v55, v34, v98, -v38
	s_waitcnt vmcnt(4)
	v_mul_f32_e32 v34, v35, v103
	v_fmac_f32_e32 v54, v20, v98
	v_mul_f32_e32 v20, v18, v101
	v_fma_f32 v37, v39, v94, -v33
	v_mul_f32_e32 v39, v21, v103
	v_fmac_f32_e32 v34, v21, v102
	v_mul_f32_e32 v52, v48, v93
	s_waitcnt lgkmcnt(1)
	v_fma_f32 v70, v79, v100, -v20
	ds_read2_b32 v[20:21], v73 offset0:96 offset1:148
	v_mul_f32_e32 v32, v49, v97
	v_mul_f32_e32 v68, v79, v101
	;; [unrolled: 1-line block ×3, first 2 shown]
	v_fmac_f32_e32 v52, v22, v92
	v_mul_f32_e32 v33, v23, v97
	v_fmac_f32_e32 v32, v23, v96
	ds_read2_b32 v[22:23], v71 offset0:16 offset1:68
	v_fmac_f32_e32 v68, v18, v100
	v_fma_f32 v35, v35, v102, -v39
	v_mul_f32_e32 v39, v19, v105
	v_fmac_f32_e32 v38, v19, v104
	ds_read2_b32 v[18:19], v71 offset0:120 offset1:172
	s_waitcnt vmcnt(3) lgkmcnt(3)
	v_mul_f32_e32 v75, v30, v107
	v_mul_f32_e32 v42, v16, v107
	v_fma_f32 v33, v49, v96, -v33
	v_mul_f32_e32 v44, v14, v109
	v_fma_f32 v39, v80, v104, -v39
	v_fmac_f32_e32 v75, v16, v106
	s_waitcnt vmcnt(1)
	v_mul_f32_e32 v16, v10, v7
	s_waitcnt lgkmcnt(2)
	v_mul_f32_e32 v87, v20, v7
	v_mul_f32_e32 v7, v12, v5
	v_fma_f32 v77, v30, v106, -v42
	v_mul_f32_e32 v42, v31, v111
	v_fma_f32 v83, v20, v6, -v16
	v_fmac_f32_e32 v87, v10, v6
	v_add_f32_e32 v10, v8, v84
	s_waitcnt lgkmcnt(1)
	v_mul_f32_e32 v79, v22, v109
	v_fma_f32 v80, v22, v108, -v44
	v_sub_f32_e32 v6, v85, v83
	v_mul_f32_e32 v48, v23, v113
	v_add_f32_e32 v10, v10, v81
	s_waitcnt lgkmcnt(0)
	v_mul_f32_e32 v96, v18, v5
	v_fma_f32 v93, v18, v4, -v7
	v_fmac_f32_e32 v79, v14, v108
	v_mul_f32_e32 v14, v17, v111
	v_add_f32_e32 v5, v84, v87
	v_mul_f32_e32 v7, 0xbeedf032, v6
	v_fmac_f32_e32 v96, v12, v4
	v_sub_f32_e32 v4, v82, v93
	v_add_f32_e32 v10, v10, v76
	v_fmac_f32_e32 v42, v17, v110
	v_mul_f32_e32 v17, v15, v113
	v_fma_f32 v44, v31, v110, -v14
	v_fmac_f32_e32 v48, v15, v112
	s_waitcnt vmcnt(0)
	v_mul_f32_e32 v86, v19, v1
	v_fmamk_f32 v12, v5, 0x3f62ad3f, v7
	v_add_f32_e32 v14, v81, v96
	v_mul_f32_e32 v15, 0xbf52af12, v4
	v_sub_f32_e32 v16, v78, v80
	v_add_f32_e32 v10, v10, v72
	v_fma_f32 v49, v23, v112, -v17
	v_fmac_f32_e32 v86, v13, v0
	v_add_f32_e32 v12, v8, v12
	v_fmamk_f32 v17, v14, 0x3f116cb1, v15
	v_add_f32_e32 v18, v76, v79
	v_mul_f32_e32 v20, 0xbf7e222b, v16
	v_add_f32_e32 v10, v10, v56
	v_mul_f32_e32 v1, v13, v1
	v_sub_f32_e32 v13, v74, v77
	v_add_f32_e32 v12, v17, v12
	v_fmamk_f32 v17, v18, 0x3df6dbef, v20
	v_add_f32_e32 v10, v10, v52
	v_add_f32_e32 v22, v72, v75
	v_mul_f32_e32 v23, 0xbf6f5d39, v13
	v_fma_f32 v89, v19, v0, -v1
	v_sub_f32_e32 v0, v57, v70
	v_add_f32_e32 v1, v10, v54
	v_add_f32_e32 v10, v17, v12
	v_fmamk_f32 v12, v22, 0xbeb58ec6, v23
	v_add_f32_e32 v17, v56, v68
	v_mul_f32_e32 v19, 0xbf29c268, v0
	v_sub_f32_e32 v66, v53, v55
	v_mul_f32_e32 v90, v21, v3
	v_add_f32_e32 v10, v12, v10
	v_add_f32_e32 v92, v52, v54
	v_fmamk_f32 v12, v17, 0xbf3f9e67, v19
	v_mul_f32_e32 v94, 0xbe750f2a, v66
	v_add_f32_e32 v1, v1, v68
	v_fmac_f32_e32 v90, v11, v2
	v_mul_f32_e32 v3, v11, v3
	v_add_f32_e32 v10, v12, v10
	v_fmamk_f32 v11, v92, 0xbf788fa5, v94
	v_lshlrev_b32_e32 v12, 2, v64
	v_mul_f32_e32 v64, 0xbf52af12, v6
	v_add_f32_e32 v1, v1, v75
	v_cndmask_b32_e64 v30, 0, 0x548, s1
	v_fma_f32 v91, v21, v2, -v3
	v_add_f32_e32 v2, v11, v10
	v_fmamk_f32 v3, v5, 0x3f116cb1, v64
	v_mul_f32_e32 v10, 0xbf6f5d39, v4
	v_mul_f32_e32 v11, 0xbf7e222b, v6
	v_add_f32_e32 v1, v1, v79
	v_add3_u32 v73, 0, v30, v12
	v_add_f32_e32 v3, v8, v3
	v_fmamk_f32 v12, v14, 0xbeb58ec6, v10
	v_fmamk_f32 v21, v5, 0x3df6dbef, v11
	v_mul_f32_e32 v88, 0xbe750f2a, v4
	v_mul_f32_e32 v95, 0xbe750f2a, v16
	v_add_f32_e32 v1, v1, v96
	v_add_f32_e32 v3, v12, v3
	;; [unrolled: 1-line block ×3, first 2 shown]
	v_fmamk_f32 v21, v14, 0xbf788fa5, v88
	v_fmamk_f32 v97, v18, 0xbf788fa5, v95
	v_mul_f32_e32 v98, 0x3f6f5d39, v16
	v_mul_f32_e32 v99, 0x3f29c268, v13
	v_add_f32_e32 v1, v1, v87
	v_add_f32_e32 v12, v21, v12
	v_add_f32_e32 v3, v97, v3
	v_fmamk_f32 v21, v18, 0xbeb58ec6, v98
	v_fmamk_f32 v97, v22, 0xbf3f9e67, v99
	v_mul_f32_e32 v100, 0x3eedf032, v13
	v_mul_f32_e32 v101, 0x3f7e222b, v0
	ds_read2_b32 v[30:31], v61 offset1:52
	s_waitcnt lgkmcnt(0)
	s_barrier
	buffer_gl0_inv
	ds_write2_b32 v73, v1, v2 offset1:26
	v_add_f32_e32 v1, v21, v12
	v_add_f32_e32 v2, v97, v3
	v_fmamk_f32 v3, v22, 0x3f62ad3f, v100
	v_fmamk_f32 v12, v17, 0x3df6dbef, v101
	v_mul_f32_e32 v21, 0xbf52af12, v0
	v_mul_f32_e32 v97, 0x3eedf032, v66
	;; [unrolled: 1-line block ×3, first 2 shown]
	v_add_f32_e32 v1, v3, v1
	v_add_f32_e32 v2, v12, v2
	v_fmamk_f32 v3, v17, 0x3f116cb1, v21
	v_fmamk_f32 v12, v92, 0x3f62ad3f, v97
	;; [unrolled: 1-line block ×3, first 2 shown]
	v_mul_f32_e32 v104, 0x3f29c268, v4
	v_mul_f32_e32 v105, 0xbf29c268, v6
	v_add_f32_e32 v1, v3, v1
	v_add_f32_e32 v2, v12, v2
	;; [unrolled: 1-line block ×3, first 2 shown]
	v_fmamk_f32 v12, v14, 0xbf3f9e67, v104
	v_fmamk_f32 v103, v5, 0xbf3f9e67, v105
	v_mul_f32_e32 v106, 0x3f7e222b, v4
	v_mul_f32_e32 v107, 0x3eedf032, v16
	;; [unrolled: 1-line block ×3, first 2 shown]
	v_add_f32_e32 v3, v12, v3
	v_add_f32_e32 v12, v8, v103
	v_fmamk_f32 v103, v14, 0x3df6dbef, v106
	v_fmamk_f32 v109, v18, 0x3f62ad3f, v107
	v_mul_f32_e32 v110, 0xbf52af12, v16
	v_fmamk_f32 v111, v92, 0xbf3f9e67, v108
	v_mul_f32_e32 v112, 0xbf7e222b, v13
	v_add_f32_e32 v12, v103, v12
	v_add_f32_e32 v3, v109, v3
	v_fmamk_f32 v103, v18, 0x3f116cb1, v110
	v_mul_f32_e32 v109, 0x3e750f2a, v13
	v_add_f32_e32 v1, v111, v1
	v_mul_f32_e32 v6, 0xbe750f2a, v6
	v_fmamk_f32 v113, v22, 0x3df6dbef, v112
	v_add_f32_e32 v12, v103, v12
	v_fmamk_f32 v103, v22, 0xbf788fa5, v109
	ds_write2_b32 v73, v2, v1 offset0:52 offset1:78
	v_mul_f32_e32 v4, 0x3eedf032, v4
	v_mul_f32_e32 v114, 0x3e750f2a, v0
	v_add_f32_e32 v3, v113, v3
	v_add_f32_e32 v1, v103, v12
	v_fmamk_f32 v12, v5, 0xbf788fa5, v6
	v_fma_f32 v6, 0xbf788fa5, v5, -v6
	v_fmamk_f32 v113, v14, 0x3f62ad3f, v4
	v_fma_f32 v4, 0x3f62ad3f, v14, -v4
	v_mul_f32_e32 v16, 0xbf29c268, v16
	v_add_f32_e32 v12, v8, v12
	v_add_f32_e32 v6, v8, v6
	v_fmamk_f32 v111, v17, 0xbf788fa5, v114
	v_mul_f32_e32 v2, 0x3eedf032, v0
	v_mul_f32_e32 v13, 0x3f52af12, v13
	v_add_f32_e32 v12, v113, v12
	v_add_f32_e32 v4, v4, v6
	v_fmamk_f32 v6, v18, 0xbf3f9e67, v16
	v_add_f32_e32 v3, v111, v3
	v_fmamk_f32 v103, v17, 0x3f62ad3f, v2
	v_mul_f32_e32 v111, 0x3f52af12, v66
	v_fma_f32 v16, 0xbf3f9e67, v18, -v16
	v_add_f32_e32 v6, v6, v12
	v_fmamk_f32 v12, v22, 0x3f116cb1, v13
	v_mul_f32_e32 v0, 0xbf6f5d39, v0
	v_add_f32_e32 v1, v103, v1
	v_fmamk_f32 v103, v92, 0x3f116cb1, v111
	v_add_f32_e32 v4, v16, v4
	v_fma_f32 v13, 0x3f116cb1, v22, -v13
	v_fma_f32 v16, 0xbeb58ec6, v5, -v102
	v_add_f32_e32 v6, v12, v6
	v_fmamk_f32 v12, v17, 0xbeb58ec6, v0
	v_add_f32_e32 v3, v103, v3
	v_mul_f32_e32 v103, 0xbf6f5d39, v66
	v_add_f32_e32 v4, v13, v4
	v_add_f32_e32 v13, v8, v16
	v_fma_f32 v16, 0xbf3f9e67, v14, -v104
	v_fma_f32 v104, 0xbf3f9e67, v5, -v105
	v_add_f32_e32 v6, v12, v6
	v_fma_f32 v0, 0xbeb58ec6, v17, -v0
	v_mul_f32_e32 v12, 0x3f7e222b, v66
	v_fmamk_f32 v102, v92, 0xbeb58ec6, v103
	v_add_f32_e32 v13, v16, v13
	v_add_f32_e32 v16, v8, v104
	v_fma_f32 v66, 0x3df6dbef, v14, -v106
	v_fma_f32 v104, 0x3f62ad3f, v18, -v107
	v_add_f32_e32 v0, v0, v4
	v_fmamk_f32 v4, v92, 0x3df6dbef, v12
	v_fma_f32 v12, 0x3df6dbef, v92, -v12
	v_add_f32_e32 v16, v66, v16
	v_add_f32_e32 v13, v104, v13
	v_fma_f32 v66, 0x3f116cb1, v18, -v110
	v_fma_f32 v104, 0x3df6dbef, v22, -v112
	v_add_f32_e32 v1, v102, v1
	v_add_f32_e32 v4, v4, v6
	;; [unrolled: 1-line block ×5, first 2 shown]
	v_fma_f32 v13, 0xbf788fa5, v22, -v109
	ds_write2_b32 v73, v3, v1 offset0:104 offset1:130
	ds_write2_b32 v73, v4, v0 offset0:156 offset1:182
	v_fma_f32 v0, 0x3f116cb1, v5, -v64
	v_fma_f32 v4, 0x3df6dbef, v5, -v11
	;; [unrolled: 1-line block ×3, first 2 shown]
	v_add_f32_e32 v1, v13, v6
	v_fma_f32 v6, 0xbeb58ec6, v14, -v10
	v_add_f32_e32 v0, v8, v0
	v_add_f32_e32 v4, v8, v4
	v_fma_f32 v11, 0xbf788fa5, v14, -v88
	v_add_f32_e32 v1, v2, v1
	v_fma_f32 v2, 0xbf788fa5, v18, -v95
	;; [unrolled: 2-line block ×4, first 2 shown]
	v_fma_f32 v7, 0x3f116cb1, v14, -v15
	v_add_f32_e32 v0, v2, v0
	v_fma_f32 v2, 0xbf3f9e67, v22, -v99
	v_add_f32_e32 v5, v8, v5
	v_add_f32_e32 v4, v6, v4
	v_fma_f32 v6, 0x3f62ad3f, v22, -v100
	v_fma_f32 v16, 0xbf788fa5, v17, -v114
	v_add_f32_e32 v0, v2, v0
	v_fma_f32 v2, 0x3df6dbef, v17, -v101
	v_add_f32_e32 v5, v7, v5
	;; [unrolled: 2-line block ×4, first 2 shown]
	v_add_f32_e32 v3, v16, v12
	v_add_f32_e32 v2, v7, v5
	v_fma_f32 v5, 0xbeb58ec6, v22, -v23
	v_add_f32_e32 v4, v6, v4
	v_fma_f32 v6, 0x3f62ad3f, v92, -v97
	v_fma_f32 v10, 0x3f116cb1, v92, -v111
	;; [unrolled: 1-line block ×4, first 2 shown]
	v_add_f32_e32 v2, v5, v2
	v_fma_f32 v5, 0xbf3f9e67, v17, -v19
	v_add_f32_e32 v0, v6, v0
	v_sub_f32_e32 v6, v51, v91
	v_add_f32_e32 v3, v10, v3
	v_add_f32_e32 v1, v8, v1
	;; [unrolled: 1-line block ×4, first 2 shown]
	v_fma_f32 v5, 0xbf788fa5, v92, -v94
	v_add_f32_e32 v7, v50, v90
	v_mul_f32_e32 v8, 0xbeedf032, v6
	v_add_nc_u32_e32 v88, 0x400, v73
	ds_write2_b32 v73, v1, v3 offset0:208 offset1:234
	ds_write2_b32 v88, v4, v0 offset0:4 offset1:30
	v_mul_f32_e32 v0, 0xbf52af12, v6
	v_add_f32_e32 v1, v5, v2
	v_fmamk_f32 v2, v7, 0x3f62ad3f, v8
	v_mul_f32_e32 v3, 0xbf7e222b, v6
	v_fma_f32 v4, 0x3f62ad3f, v7, -v8
	v_mul_f32_e32 v8, 0xbf6f5d39, v6
	v_mul_f32_e32 v11, 0xbf29c268, v6
	;; [unrolled: 1-line block ×3, first 2 shown]
	v_fmamk_f32 v5, v7, 0x3f116cb1, v0
	v_fma_f32 v0, 0x3f116cb1, v7, -v0
	v_fmamk_f32 v10, v7, 0x3df6dbef, v3
	v_fma_f32 v3, 0x3df6dbef, v7, -v3
	;; [unrolled: 2-line block ×5, first 2 shown]
	v_sub_f32_e32 v7, v47, v89
	v_add_f32_e32 v18, v9, v50
	v_add_f32_e32 v15, v46, v86
	v_sub_f32_e32 v17, v45, v49
	v_add_f32_e32 v2, v9, v2
	v_mul_f32_e32 v16, 0xbf52af12, v7
	v_add_f32_e32 v18, v18, v46
	v_add_f32_e32 v20, v43, v48
	v_mul_f32_e32 v21, 0xbf7e222b, v17
	v_sub_f32_e32 v22, v41, v44
	v_fmamk_f32 v19, v15, 0x3f116cb1, v16
	v_add_f32_e32 v18, v18, v43
	v_add_f32_e32 v23, v40, v42
	v_sub_f32_e32 v66, v37, v39
	v_mul_f32_e32 v64, 0xbf6f5d39, v22
	v_add_f32_e32 v2, v19, v2
	v_fmamk_f32 v19, v20, 0x3df6dbef, v21
	v_add_f32_e32 v18, v18, v40
	v_add_f32_e32 v4, v9, v4
	;; [unrolled: 1-line block ×12, first 2 shown]
	v_fmamk_f32 v19, v23, 0xbeb58ec6, v64
	v_add_f32_e32 v94, v36, v38
	v_mul_f32_e32 v95, 0xbf29c268, v66
	v_add_f32_e32 v6, v9, v6
	v_sub_f32_e32 v9, v33, v35
	v_add_f32_e32 v18, v18, v36
	v_add_f32_e32 v2, v19, v2
	v_fmamk_f32 v19, v94, 0xbf3f9e67, v95
	v_add_f32_e32 v97, v32, v34
	v_mul_f32_e32 v98, 0xbe750f2a, v9
	v_add_f32_e32 v18, v18, v32
	v_mov_b32_e32 v92, 0x548
	v_add_f32_e32 v2, v19, v2
	v_mov_b32_e32 v19, 2
	v_fmamk_f32 v99, v97, 0xbf788fa5, v98
	v_add_f32_e32 v18, v18, v34
	v_mul_f32_e32 v100, 0xbf6f5d39, v7
	v_mul_u32_u24_sdwa v62, v62, v92 dst_sel:DWORD dst_unused:UNUSED_PAD src0_sel:WORD_0 src1_sel:DWORD
	v_lshlrev_b32_sdwa v19, v19, v60 dst_sel:DWORD dst_unused:UNUSED_PAD src0_sel:DWORD src1_sel:BYTE_0
	v_add_f32_e32 v2, v99, v2
	ds_write_b32 v73, v1 offset:1248
	v_add_f32_e32 v1, v18, v38
	v_fmamk_f32 v18, v15, 0xbeb58ec6, v100
	v_mul_f32_e32 v60, 0xbe750f2a, v7
	v_mul_f32_e32 v99, 0xbe750f2a, v17
	v_add3_u32 v92, 0, v62, v19
	v_add_f32_e32 v1, v1, v42
	v_add_f32_e32 v5, v18, v5
	v_fmamk_f32 v18, v15, 0xbf788fa5, v60
	v_fmamk_f32 v19, v20, 0xbf788fa5, v99
	v_mul_f32_e32 v62, 0x3f6f5d39, v17
	v_mul_f32_e32 v101, 0x3f29c268, v22
	v_add_f32_e32 v1, v1, v48
	v_add_f32_e32 v10, v18, v10
	v_add_f32_e32 v5, v19, v5
	v_fmamk_f32 v18, v20, 0xbeb58ec6, v62
	v_fmamk_f32 v19, v23, 0xbf3f9e67, v101
	v_mul_f32_e32 v102, 0x3eedf032, v22
	v_mul_f32_e32 v103, 0x3f7e222b, v66
	v_add_f32_e32 v1, v1, v86
	;; [unrolled: 7-line block ×3, first 2 shown]
	v_add_f32_e32 v10, v18, v10
	v_add_f32_e32 v5, v19, v5
	v_fmamk_f32 v18, v94, 0x3f116cb1, v104
	v_fmamk_f32 v19, v97, 0x3f62ad3f, v105
	v_mul_f32_e32 v106, 0x3f29c268, v7
	v_mul_f32_e32 v107, 0x3f7e222b, v7
	ds_write2_b32 v92, v1, v2 offset1:26
	v_add_f32_e32 v1, v18, v10
	v_add_f32_e32 v2, v19, v5
	v_fmamk_f32 v5, v15, 0xbf3f9e67, v106
	v_fmamk_f32 v10, v15, 0x3df6dbef, v107
	v_mul_f32_e32 v18, 0x3eedf032, v17
	v_mul_f32_e32 v19, 0xbf52af12, v17
	v_mul_f32_e32 v108, 0xbf29c268, v9
	v_add_f32_e32 v5, v5, v12
	v_add_f32_e32 v10, v10, v13
	v_fmamk_f32 v12, v20, 0x3f62ad3f, v18
	v_fmamk_f32 v13, v20, 0x3f116cb1, v19
	v_mul_f32_e32 v109, 0xbf7e222b, v22
	v_fmamk_f32 v110, v97, 0xbf3f9e67, v108
	v_mul_f32_e32 v17, 0xbf29c268, v17
	v_add_f32_e32 v5, v12, v5
	v_add_f32_e32 v10, v13, v10
	v_fmamk_f32 v12, v23, 0x3df6dbef, v109
	v_mul_f32_e32 v13, 0x3e750f2a, v66
	v_add_f32_e32 v1, v110, v1
	v_mul_f32_e32 v111, 0x3e750f2a, v22
	v_mul_f32_e32 v22, 0x3f52af12, v22
	v_add_f32_e32 v5, v12, v5
	v_fmamk_f32 v12, v94, 0xbf788fa5, v13
	ds_write2_b32 v92, v2, v1 offset0:52 offset1:78
	v_mul_f32_e32 v1, 0x3eedf032, v7
	v_fmamk_f32 v112, v23, 0xbf788fa5, v111
	v_mul_f32_e32 v113, 0x3eedf032, v66
	v_add_f32_e32 v2, v12, v5
	v_mul_f32_e32 v5, 0x3f52af12, v9
	v_fmamk_f32 v12, v15, 0x3f62ad3f, v1
	v_fma_f32 v1, 0x3f62ad3f, v15, -v1
	v_add_f32_e32 v10, v112, v10
	v_fmamk_f32 v110, v94, 0x3f62ad3f, v113
	v_add_f32_e32 v12, v12, v14
	v_fmamk_f32 v14, v20, 0xbf3f9e67, v17
	v_add_f32_e32 v1, v1, v6
	v_fma_f32 v6, 0xbf3f9e67, v20, -v17
	v_mul_f32_e32 v17, 0xbf6f5d39, v66
	v_add_f32_e32 v7, v110, v10
	v_add_f32_e32 v12, v14, v12
	v_fmamk_f32 v14, v23, 0x3f116cb1, v22
	v_add_f32_e32 v1, v6, v1
	v_fma_f32 v6, 0x3f116cb1, v23, -v22
	v_fma_f32 v22, 0x3df6dbef, v15, -v107
	v_mul_f32_e32 v10, 0xbf6f5d39, v9
	v_add_f32_e32 v12, v14, v12
	v_fma_f32 v14, 0xbf3f9e67, v15, -v106
	v_add_f32_e32 v1, v6, v1
	v_fmamk_f32 v6, v94, 0xbeb58ec6, v17
	v_mul_f32_e32 v9, 0x3f7e222b, v9
	v_add_f32_e32 v11, v22, v11
	v_add_f32_e32 v8, v14, v8
	v_fma_f32 v14, 0x3f62ad3f, v20, -v18
	v_fma_f32 v18, 0x3f116cb1, v20, -v19
	v_add_f32_e32 v6, v6, v12
	v_fma_f32 v12, 0xbeb58ec6, v94, -v17
	v_fmamk_f32 v17, v97, 0x3df6dbef, v9
	v_add_f32_e32 v8, v14, v8
	v_fma_f32 v14, 0x3df6dbef, v23, -v109
	v_add_f32_e32 v11, v18, v11
	v_fma_f32 v18, 0xbf788fa5, v23, -v111
	;; [unrolled: 2-line block ×6, first 2 shown]
	v_fma_f32 v14, 0xbf788fa5, v15, -v60
	v_add_f32_e32 v8, v12, v8
	v_fma_f32 v12, 0x3f116cb1, v15, -v16
	v_add_f32_e32 v11, v13, v11
	v_add_f32_e32 v0, v9, v0
	;; [unrolled: 1-line block ×3, first 2 shown]
	v_fma_f32 v9, 0xbf788fa5, v20, -v99
	v_fma_f32 v13, 0xbeb58ec6, v20, -v62
	v_fmamk_f32 v110, v97, 0x3f116cb1, v5
	v_fma_f32 v5, 0x3f116cb1, v97, -v5
	v_add_f32_e32 v4, v12, v4
	v_fma_f32 v12, 0x3df6dbef, v20, -v21
	v_add_f32_e32 v0, v9, v0
	v_add_f32_e32 v3, v13, v3
	v_fma_f32 v9, 0xbf3f9e67, v23, -v101
	v_fma_f32 v13, 0x3f62ad3f, v23, -v102
	v_add_f32_e32 v5, v5, v8
	v_add_f32_e32 v4, v12, v4
	v_fma_f32 v8, 0xbeb58ec6, v23, -v64
	v_add_f32_e32 v0, v9, v0
	v_add_f32_e32 v3, v13, v3
	v_fma_f32 v9, 0x3df6dbef, v94, -v103
	v_fma_f32 v12, 0x3f116cb1, v94, -v104
	v_add_f32_e32 v4, v8, v4
	v_fma_f32 v8, 0xbf3f9e67, v94, -v95
	v_fmamk_f32 v112, v97, 0xbeb58ec6, v10
	v_fma_f32 v10, 0xbeb58ec6, v97, -v10
	v_add_f32_e32 v0, v9, v0
	v_add_f32_e32 v3, v12, v3
	v_fma_f32 v9, 0x3f62ad3f, v97, -v105
	v_fma_f32 v12, 0xbf3f9e67, v97, -v108
	v_add_f32_e32 v4, v8, v4
	v_fma_f32 v8, 0xbf788fa5, v97, -v98
	v_add_f32_e32 v2, v110, v2
	v_add_f32_e32 v7, v112, v7
	;; [unrolled: 1-line block ×6, first 2 shown]
	v_add_nc_u32_e32 v94, 0x400, v92
	v_add_nc_u32_e32 v95, 0xe00, v61
	v_add_f32_e32 v62, v8, v4
	ds_write2_b32 v92, v2, v7 offset0:104 offset1:130
	ds_write2_b32 v92, v6, v1 offset0:156 offset1:182
	;; [unrolled: 1-line block ×4, first 2 shown]
	ds_write_b32 v92, v62 offset:1248
	s_waitcnt lgkmcnt(0)
	s_barrier
	buffer_gl0_inv
	ds_read2_b32 v[0:1], v61 offset1:52
	ds_read2_b32 v[6:7], v67 offset0:82 offset1:134
	ds_read2_b32 v[4:5], v65 offset0:164 offset1:216
	;; [unrolled: 1-line block ×11, first 2 shown]
                                        ; implicit-def: $vgpr64
                                        ; implicit-def: $vgpr66
	s_and_saveexec_b32 s1, s0
	s_cbranch_execz .LBB0_13
; %bb.12:
	ds_read_b32 v60, v61 offset:1248
	ds_read_b32 v62, v61 offset:2600
	;; [unrolled: 1-line block ×4, first 2 shown]
.LBB0_13:
	s_or_b32 exec_lo, exec_lo, s1
	v_add_f32_e32 v97, v30, v85
	v_sub_f32_e32 v84, v84, v87
	v_add_f32_e32 v87, v82, v93
	v_add_f32_e32 v85, v85, v83
	v_sub_f32_e32 v81, v81, v96
	v_add_f32_e32 v82, v97, v82
	v_sub_f32_e32 v76, v76, v79
	v_mul_f32_e32 v102, 0xbeb58ec6, v87
	v_mul_f32_e32 v97, 0x3f116cb1, v85
	v_mul_f32_e32 v96, 0x3f62ad3f, v85
	v_add_f32_e32 v82, v82, v78
	v_mul_f32_e32 v98, 0x3df6dbef, v85
	v_mul_f32_e32 v99, 0xbeb58ec6, v85
	v_fmamk_f32 v106, v84, 0x3f52af12, v97
	v_fmac_f32_e32 v97, 0xbf52af12, v84
	v_add_f32_e32 v82, v82, v74
	v_mul_f32_e32 v100, 0xbf3f9e67, v85
	v_mul_f32_e32 v85, 0xbf788fa5, v85
	v_fmamk_f32 v111, v81, 0x3f6f5d39, v102
	v_fmac_f32_e32 v102, 0xbf6f5d39, v81
	v_add_f32_e32 v82, v82, v57
	v_add_f32_e32 v97, v30, v97
	v_mul_f32_e32 v101, 0x3f116cb1, v87
	v_mul_f32_e32 v103, 0xbf788fa5, v87
	v_fmamk_f32 v105, v84, 0x3eedf032, v96
	v_add_f32_e32 v82, v82, v53
	v_fmac_f32_e32 v96, 0xbeedf032, v84
	v_fmamk_f32 v107, v84, 0x3f7e222b, v98
	v_fmac_f32_e32 v98, 0xbf7e222b, v84
	v_fmamk_f32 v108, v84, 0x3f6f5d39, v99
	v_add_f32_e32 v82, v82, v55
	v_fmac_f32_e32 v99, 0xbf6f5d39, v84
	v_fmamk_f32 v109, v84, 0x3f29c268, v100
	v_fmac_f32_e32 v100, 0xbf29c268, v84
	v_fmamk_f32 v110, v84, 0x3e750f2a, v85
	v_add_f32_e32 v82, v82, v70
	v_fmac_f32_e32 v85, 0xbe750f2a, v84
	v_add_f32_e32 v97, v102, v97
	v_mul_f32_e32 v102, 0x3df6dbef, v87
	v_add_f32_e32 v78, v78, v80
	v_add_f32_e32 v82, v82, v77
	v_mul_f32_e32 v104, 0xbf3f9e67, v87
	v_fmamk_f32 v84, v81, 0x3f52af12, v101
	v_fmac_f32_e32 v101, 0xbf52af12, v81
	v_add_f32_e32 v105, v30, v105
	v_add_f32_e32 v82, v82, v80
	;; [unrolled: 1-line block ×14, first 2 shown]
	v_fmamk_f32 v83, v81, 0x3e750f2a, v103
	v_fmac_f32_e32 v103, 0xbe750f2a, v81
	v_fmamk_f32 v80, v81, 0xbf7e222b, v102
	v_mul_f32_e32 v87, 0x3f62ad3f, v87
	v_fmac_f32_e32 v102, 0x3f7e222b, v81
	v_mul_f32_e32 v79, 0x3df6dbef, v78
	v_add_f32_e32 v84, v84, v105
	v_add_f32_e32 v96, v101, v96
	v_fmamk_f32 v101, v81, 0xbf29c268, v104
	v_fmac_f32_e32 v104, 0x3f29c268, v81
	v_add_f32_e32 v98, v103, v98
	v_fmamk_f32 v103, v81, 0xbeedf032, v87
	v_fmac_f32_e32 v87, 0x3eedf032, v81
	v_add_f32_e32 v81, v102, v100
	v_fmamk_f32 v100, v76, 0x3f7e222b, v79
	v_mul_f32_e32 v102, 0xbf788fa5, v78
	v_add_f32_e32 v82, v111, v106
	v_add_f32_e32 v85, v87, v85
	;; [unrolled: 1-line block ×4, first 2 shown]
	v_fmamk_f32 v87, v76, 0x3e750f2a, v102
	v_mul_f32_e32 v100, 0xbeb58ec6, v78
	v_fmac_f32_e32 v79, 0xbf7e222b, v76
	v_add_f32_e32 v74, v74, v77
	v_add_f32_e32 v80, v80, v109
	;; [unrolled: 1-line block ×3, first 2 shown]
	v_fmamk_f32 v87, v76, 0xbf6f5d39, v100
	v_fmac_f32_e32 v102, 0xbe750f2a, v76
	v_add_f32_e32 v79, v79, v96
	v_mul_f32_e32 v96, 0x3f62ad3f, v78
	v_sub_f32_e32 v72, v72, v75
	v_add_f32_e32 v83, v87, v83
	v_mul_f32_e32 v87, 0x3f116cb1, v78
	v_mul_f32_e32 v78, 0xbf3f9e67, v78
	;; [unrolled: 1-line block ×3, first 2 shown]
	v_add_f32_e32 v97, v102, v97
	v_fmac_f32_e32 v100, 0x3f6f5d39, v76
	v_fmamk_f32 v77, v76, 0x3f52af12, v87
	v_fmac_f32_e32 v87, 0xbf52af12, v76
	v_fmamk_f32 v102, v76, 0xbeedf032, v96
	v_fmac_f32_e32 v96, 0x3eedf032, v76
	v_add_f32_e32 v101, v101, v108
	v_add_f32_e32 v77, v77, v80
	v_fmamk_f32 v80, v76, 0x3f29c268, v78
	v_fmac_f32_e32 v78, 0xbf29c268, v76
	v_add_f32_e32 v76, v87, v81
	v_fmamk_f32 v81, v72, 0x3f6f5d39, v75
	v_mul_f32_e32 v87, 0xbf3f9e67, v74
	v_fmac_f32_e32 v75, 0xbf6f5d39, v72
	v_add_f32_e32 v93, v103, v93
	v_add_f32_e32 v78, v78, v85
	;; [unrolled: 1-line block ×3, first 2 shown]
	v_fmamk_f32 v84, v72, 0xbf29c268, v87
	v_fmac_f32_e32 v87, 0x3f29c268, v72
	v_mul_f32_e32 v85, 0x3f62ad3f, v74
	v_add_f32_e32 v75, v75, v79
	v_mul_f32_e32 v79, 0x3df6dbef, v74
	v_add_f32_e32 v98, v100, v98
	v_add_f32_e32 v100, v102, v101
	;; [unrolled: 1-line block ×5, first 2 shown]
	v_fmamk_f32 v87, v72, 0xbeedf032, v85
	v_fmamk_f32 v93, v72, 0x3f7e222b, v79
	v_mul_f32_e32 v97, 0xbf788fa5, v74
	v_add_f32_e32 v57, v57, v70
	v_mul_f32_e32 v70, 0x3f116cb1, v74
	v_add_f32_e32 v83, v87, v83
	v_add_f32_e32 v87, v93, v100
	v_fmamk_f32 v93, v72, 0xbe750f2a, v97
	v_sub_f32_e32 v56, v56, v68
	v_mul_f32_e32 v68, 0xbf3f9e67, v57
	v_add_f32_e32 v99, v104, v99
	v_fmac_f32_e32 v79, 0xbf7e222b, v72
	v_add_f32_e32 v74, v93, v77
	v_fmamk_f32 v77, v72, 0xbf52af12, v70
	v_fmamk_f32 v93, v56, 0x3f29c268, v68
	v_add_f32_e32 v96, v96, v99
	v_fmac_f32_e32 v85, 0x3eedf032, v72
	v_fmac_f32_e32 v97, 0x3e750f2a, v72
	v_add_f32_e32 v77, v77, v80
	v_add_f32_e32 v80, v93, v81
	v_mul_f32_e32 v81, 0xbf788fa5, v57
	v_add_f32_e32 v79, v79, v96
	v_fmac_f32_e32 v70, 0x3f52af12, v72
	v_mul_f32_e32 v72, 0x3df6dbef, v57
	v_sub_f32_e32 v52, v52, v54
	v_fmamk_f32 v93, v56, 0xbe750f2a, v81
	v_fmac_f32_e32 v81, 0x3e750f2a, v56
	v_add_f32_e32 v70, v70, v78
	v_fmamk_f32 v78, v56, 0xbf7e222b, v72
	v_fmac_f32_e32 v68, 0xbf29c268, v56
	v_add_f32_e32 v53, v53, v55
	v_add_f32_e32 v79, v81, v79
	;; [unrolled: 1-line block ×4, first 2 shown]
	v_mul_f32_e32 v82, 0x3f62ad3f, v57
	v_add_f32_e32 v76, v97, v76
	v_fmac_f32_e32 v72, 0x3f7e222b, v56
	v_add_f32_e32 v54, v81, v47
	v_add_f32_e32 v68, v68, v75
	v_mul_f32_e32 v75, 0x3f116cb1, v57
	v_fmamk_f32 v96, v56, 0xbeedf032, v82
	v_mul_f32_e32 v55, 0xbeb58ec6, v57
	v_add_f32_e32 v54, v54, v45
	v_fmac_f32_e32 v82, 0x3eedf032, v56
	v_mul_f32_e32 v57, 0xbf788fa5, v53
	v_add_f32_e32 v72, v72, v84
	v_fmamk_f32 v84, v56, 0x3f52af12, v75
	v_add_f32_e32 v54, v54, v41
	v_fmac_f32_e32 v75, 0xbf52af12, v56
	v_fmamk_f32 v81, v56, 0x3f6f5d39, v55
	v_fmac_f32_e32 v55, 0xbf6f5d39, v56
	v_add_f32_e32 v56, v82, v76
	v_fmamk_f32 v76, v52, 0x3e750f2a, v57
	v_add_f32_e32 v54, v54, v37
	v_fmac_f32_e32 v57, 0xbe750f2a, v52
	v_add_f32_e32 v55, v55, v70
	v_mul_f32_e32 v70, 0x3f62ad3f, v53
	v_add_f32_e32 v76, v76, v80
	v_mul_f32_e32 v80, 0xbf3f9e67, v53
	v_add_f32_e32 v54, v54, v33
	v_add_f32_e32 v85, v85, v98
	v_add_f32_e32 v83, v84, v83
	v_add_f32_e32 v77, v81, v77
	v_fmamk_f32 v81, v52, 0xbeedf032, v70
	v_fmac_f32_e32 v70, 0x3eedf032, v52
	v_add_f32_e32 v57, v57, v68
	v_fmamk_f32 v68, v52, 0x3f29c268, v80
	v_add_f32_e32 v54, v54, v35
	v_add_f32_e32 v75, v75, v85
	;; [unrolled: 1-line block ×4, first 2 shown]
	v_mul_f32_e32 v70, 0x3f116cb1, v53
	v_add_f32_e32 v81, v68, v83
	v_fmac_f32_e32 v80, 0xbf29c268, v52
	v_mul_f32_e32 v68, 0xbeb58ec6, v53
	v_add_f32_e32 v54, v54, v39
	v_add_f32_e32 v74, v96, v74
	v_fmamk_f32 v82, v52, 0xbf52af12, v70
	v_fmac_f32_e32 v70, 0x3f52af12, v52
	v_add_f32_e32 v75, v80, v75
	v_fmamk_f32 v80, v52, 0x3f6f5d39, v68
	v_mul_f32_e32 v53, 0x3df6dbef, v53
	v_add_f32_e32 v54, v54, v44
	v_add_f32_e32 v51, v51, v91
	;; [unrolled: 1-line block ×5, first 2 shown]
	v_fmac_f32_e32 v68, 0xbf6f5d39, v52
	v_fmamk_f32 v70, v52, 0xbf7e222b, v53
	v_add_f32_e32 v54, v54, v49
	v_sub_f32_e32 v50, v50, v90
	v_mul_f32_e32 v80, 0x3f62ad3f, v51
	v_mul_f32_e32 v87, 0xbf3f9e67, v51
	v_add_f32_e32 v47, v47, v89
	v_add_f32_e32 v56, v68, v56
	v_fmac_f32_e32 v53, 0x3f7e222b, v52
	v_add_f32_e32 v52, v54, v89
	v_add_f32_e32 v54, v70, v77
	v_fmamk_f32 v68, v50, 0x3eedf032, v80
	v_mul_f32_e32 v70, 0x3f116cb1, v51
	v_mul_f32_e32 v77, 0x3df6dbef, v51
	;; [unrolled: 1-line block ×3, first 2 shown]
	v_fmamk_f32 v89, v50, 0x3f29c268, v87
	v_mul_f32_e32 v51, 0xbf788fa5, v51
	v_fmac_f32_e32 v87, 0xbf29c268, v50
	v_sub_f32_e32 v46, v46, v86
	v_mul_f32_e32 v86, 0x3f116cb1, v47
	v_add_f32_e32 v82, v82, v84
	v_add_f32_e32 v53, v53, v55
	;; [unrolled: 1-line block ×3, first 2 shown]
	v_fmac_f32_e32 v80, 0xbeedf032, v50
	v_add_f32_e32 v55, v31, v68
	v_fmamk_f32 v68, v50, 0x3f52af12, v70
	v_fmac_f32_e32 v70, 0xbf52af12, v50
	v_fmamk_f32 v84, v50, 0x3f7e222b, v77
	v_fmac_f32_e32 v77, 0xbf7e222b, v50
	;; [unrolled: 2-line block ×4, first 2 shown]
	v_add_f32_e32 v50, v31, v87
	v_fmamk_f32 v87, v46, 0x3f52af12, v86
	v_mul_f32_e32 v91, 0xbeb58ec6, v47
	v_add_f32_e32 v80, v31, v80
	v_add_f32_e32 v68, v31, v68
	;; [unrolled: 1-line block ×11, first 2 shown]
	v_fmamk_f32 v55, v46, 0x3f6f5d39, v91
	v_mul_f32_e32 v87, 0xbf788fa5, v47
	v_fmac_f32_e32 v86, 0xbf52af12, v46
	v_fmac_f32_e32 v91, 0xbf6f5d39, v46
	v_add_f32_e32 v45, v45, v49
	v_add_f32_e32 v55, v55, v68
	v_fmamk_f32 v68, v46, 0x3e750f2a, v87
	v_add_f32_e32 v80, v86, v80
	v_mul_f32_e32 v86, 0xbf3f9e67, v47
	v_add_f32_e32 v70, v91, v70
	v_sub_f32_e32 v43, v43, v48
	v_add_f32_e32 v68, v68, v84
	v_mul_f32_e32 v84, 0x3df6dbef, v47
	v_fmamk_f32 v91, v46, 0xbf29c268, v86
	v_fmac_f32_e32 v86, 0x3f29c268, v46
	v_mul_f32_e32 v47, 0x3f62ad3f, v47
	v_mul_f32_e32 v48, 0x3df6dbef, v45
	v_fmamk_f32 v49, v46, 0xbf7e222b, v84
	v_fmac_f32_e32 v84, 0x3f7e222b, v46
	v_fmac_f32_e32 v87, 0xbe750f2a, v46
	v_add_f32_e32 v83, v86, v83
	v_fmamk_f32 v86, v46, 0xbeedf032, v47
	v_fmac_f32_e32 v47, 0x3eedf032, v46
	v_add_f32_e32 v46, v84, v50
	v_fmamk_f32 v50, v43, 0x3f7e222b, v48
	v_mul_f32_e32 v84, 0xbf788fa5, v45
	v_fmac_f32_e32 v48, 0xbf7e222b, v43
	v_add_f32_e32 v31, v47, v31
	v_add_f32_e32 v41, v41, v44
	;; [unrolled: 1-line block ×3, first 2 shown]
	v_fmamk_f32 v50, v43, 0x3e750f2a, v84
	v_mul_f32_e32 v51, 0xbeb58ec6, v45
	v_add_f32_e32 v49, v49, v89
	v_fmac_f32_e32 v84, 0xbe750f2a, v43
	v_add_f32_e32 v48, v48, v80
	v_add_f32_e32 v50, v50, v55
	v_fmamk_f32 v55, v43, 0xbf6f5d39, v51
	v_mul_f32_e32 v80, 0x3f62ad3f, v45
	v_sub_f32_e32 v40, v40, v42
	v_mul_f32_e32 v42, 0xbeb58ec6, v41
	v_add_f32_e32 v70, v84, v70
	v_add_f32_e32 v55, v55, v68
	v_mul_f32_e32 v68, 0x3f116cb1, v45
	v_mul_f32_e32 v45, 0xbf3f9e67, v45
	v_fmac_f32_e32 v51, 0x3f6f5d39, v43
	v_fmamk_f32 v84, v43, 0xbeedf032, v80
	v_fmac_f32_e32 v80, 0x3eedf032, v43
	v_fmamk_f32 v44, v43, 0x3f52af12, v68
	v_fmac_f32_e32 v68, 0xbf52af12, v43
	v_add_f32_e32 v37, v37, v39
	v_sub_f32_e32 v36, v36, v38
	v_add_f32_e32 v77, v87, v77
	v_add_f32_e32 v44, v44, v49
	v_fmamk_f32 v49, v43, 0x3f29c268, v45
	v_fmac_f32_e32 v45, 0xbf29c268, v43
	v_add_f32_e32 v43, v68, v46
	v_fmamk_f32 v46, v40, 0x3f6f5d39, v42
	v_mul_f32_e32 v68, 0xbf3f9e67, v41
	v_fmac_f32_e32 v42, 0xbf6f5d39, v40
	v_add_f32_e32 v31, v45, v31
	v_mul_f32_e32 v38, 0xbf3f9e67, v37
	v_add_f32_e32 v45, v46, v47
	v_fmamk_f32 v46, v40, 0xbf29c268, v68
	v_mul_f32_e32 v47, 0x3f62ad3f, v41
	v_fmac_f32_e32 v68, 0x3f29c268, v40
	v_add_f32_e32 v42, v42, v48
	v_mul_f32_e32 v48, 0x3df6dbef, v41
	v_add_f32_e32 v46, v46, v50
	v_fmamk_f32 v50, v40, 0xbeedf032, v47
	v_add_f32_e32 v68, v68, v70
	v_fmac_f32_e32 v47, 0x3eedf032, v40
	v_fmamk_f32 v70, v40, 0x3f7e222b, v48
	v_fmac_f32_e32 v48, 0xbf7e222b, v40
	v_add_f32_e32 v50, v50, v55
	v_mul_f32_e32 v55, 0xbf788fa5, v41
	v_mul_f32_e32 v41, 0x3f116cb1, v41
	v_add_f32_e32 v86, v86, v90
	v_add_f32_e32 v51, v51, v77
	;; [unrolled: 1-line block ×3, first 2 shown]
	v_fmamk_f32 v39, v40, 0xbe750f2a, v55
	v_fmac_f32_e32 v55, 0x3e750f2a, v40
	v_add_f32_e32 v49, v49, v86
	v_add_f32_e32 v47, v47, v51
	;; [unrolled: 1-line block ×4, first 2 shown]
	v_fmamk_f32 v44, v40, 0xbf52af12, v41
	v_add_f32_e32 v43, v55, v43
	v_fmac_f32_e32 v41, 0x3f52af12, v40
	v_fmamk_f32 v40, v36, 0x3f29c268, v38
	v_mul_f32_e32 v55, 0x3df6dbef, v37
	v_fmac_f32_e32 v38, 0xbf29c268, v36
	v_add_f32_e32 v44, v44, v49
	v_add_f32_e32 v31, v41, v31
	;; [unrolled: 1-line block ×3, first 2 shown]
	v_fmamk_f32 v41, v36, 0xbf7e222b, v55
	v_mul_f32_e32 v45, 0x3f116cb1, v37
	v_add_f32_e32 v38, v38, v42
	v_fmac_f32_e32 v55, 0x3f7e222b, v36
	v_mul_f32_e32 v42, 0xbf788fa5, v37
	v_add_f32_e32 v41, v41, v46
	v_fmamk_f32 v46, v36, 0x3f52af12, v45
	v_fmac_f32_e32 v45, 0xbf52af12, v36
	v_add_f32_e32 v49, v55, v68
	v_fmamk_f32 v55, v36, 0xbe750f2a, v42
	v_fmac_f32_e32 v42, 0x3e750f2a, v36
	v_add_f32_e32 v33, v33, v35
	v_add_f32_e32 v45, v45, v47
	v_mul_f32_e32 v47, 0x3f62ad3f, v37
	v_mul_f32_e32 v35, 0xbeb58ec6, v37
	v_add_f32_e32 v42, v42, v48
	v_sub_f32_e32 v32, v32, v34
	v_mul_f32_e32 v34, 0xbf788fa5, v33
	v_fmamk_f32 v37, v36, 0xbeedf032, v47
	v_fmac_f32_e32 v47, 0x3eedf032, v36
	v_fmamk_f32 v48, v36, 0x3f6f5d39, v35
	v_add_f32_e32 v85, v91, v85
	v_fmac_f32_e32 v35, 0xbf6f5d39, v36
	v_add_f32_e32 v37, v37, v39
	v_add_f32_e32 v39, v47, v43
	v_fmamk_f32 v36, v32, 0x3e750f2a, v34
	v_add_f32_e32 v43, v48, v44
	v_mul_f32_e32 v44, 0x3f62ad3f, v33
	v_add_f32_e32 v77, v84, v85
	v_fmac_f32_e32 v34, 0xbe750f2a, v32
	v_add_f32_e32 v31, v35, v31
	v_add_f32_e32 v35, v36, v40
	v_mul_f32_e32 v36, 0xbf3f9e67, v33
	v_fmamk_f32 v40, v32, 0xbeedf032, v44
	v_fmac_f32_e32 v44, 0x3eedf032, v32
	v_add_f32_e32 v51, v70, v77
	v_add_f32_e32 v46, v46, v50
	;; [unrolled: 1-line block ×3, first 2 shown]
	v_mul_f32_e32 v34, 0x3f116cb1, v33
	v_fmamk_f32 v38, v32, 0x3f29c268, v36
	v_fmac_f32_e32 v36, 0xbf29c268, v32
	v_add_f32_e32 v68, v44, v49
	v_mul_f32_e32 v44, 0xbeb58ec6, v33
	v_mul_f32_e32 v33, 0x3df6dbef, v33
	v_add_f32_e32 v50, v55, v51
	v_add_f32_e32 v40, v40, v41
	v_fmamk_f32 v41, v32, 0xbf52af12, v34
	v_add_f32_e32 v38, v38, v46
	v_add_f32_e32 v36, v36, v45
	v_fmac_f32_e32 v34, 0x3f52af12, v32
	v_fmamk_f32 v45, v32, 0x3f6f5d39, v44
	v_fmac_f32_e32 v44, 0xbf6f5d39, v32
	v_fmamk_f32 v46, v32, 0xbf7e222b, v33
	v_fmac_f32_e32 v33, 0x3f7e222b, v32
	v_add_f32_e32 v41, v41, v50
	v_add_f32_e32 v32, v34, v42
	;; [unrolled: 1-line block ×6, first 2 shown]
	s_waitcnt lgkmcnt(0)
	s_barrier
	buffer_gl0_inv
	ds_write2_b32 v73, v30, v76 offset1:26
	ds_write2_b32 v73, v78, v81 offset0:52 offset1:78
	ds_write2_b32 v73, v82, v74 offset0:104 offset1:130
	ds_write2_b32 v73, v54, v53 offset0:156 offset1:182
	ds_write2_b32 v73, v56, v79 offset0:208 offset1:234
	ds_write2_b32 v88, v75, v72 offset0:4 offset1:30
	ds_write_b32 v73, v57 offset:1248
	ds_write2_b32 v92, v52, v35 offset1:26
	ds_write2_b32 v92, v40, v38 offset0:52 offset1:78
	ds_write2_b32 v92, v41, v34 offset0:104 offset1:130
	ds_write2_b32 v92, v39, v31 offset0:156 offset1:182
	ds_write2_b32 v92, v37, v32 offset0:208 offset1:234
	ds_write2_b32 v94, v36, v68 offset0:4 offset1:30
	ds_write_b32 v92, v70 offset:1248
	s_waitcnt lgkmcnt(0)
	s_barrier
	buffer_gl0_inv
	ds_read2_b32 v[30:31], v61 offset1:52
	ds_read2_b32 v[36:37], v67 offset0:82 offset1:134
	ds_read2_b32 v[40:41], v65 offset0:164 offset1:216
	;; [unrolled: 1-line block ×11, first 2 shown]
                                        ; implicit-def: $vgpr63
                                        ; implicit-def: $vgpr65
	s_and_saveexec_b32 s1, s0
	s_cbranch_execz .LBB0_15
; %bb.14:
	ds_read_b32 v68, v61 offset:1248
	ds_read_b32 v70, v61 offset:2600
	;; [unrolled: 1-line block ×4, first 2 shown]
	v_mov_b32_e32 v58, v27
.LBB0_15:
	s_or_b32 exec_lo, exec_lo, s1
	s_and_saveexec_b32 s1, vcc_lo
	s_cbranch_execz .LBB0_18
; %bb.16:
	v_mul_u32_u24_e32 v27, 3, v59
	v_mul_u32_u24_e32 v67, 3, v26
	v_mov_b32_e32 v33, 0
	v_mad_u32_u24 v32, v59, 3, 0xffffff64
	v_lshlrev_b32_e32 v27, 3, v27
	v_lshlrev_b64 v[77:78], 3, v[32:33]
	v_add_co_u32 v27, s1, s8, v27
	v_add_co_ci_u32_e64 v61, null, s9, 0, s1
	v_add_co_u32 v56, vcc_lo, 0x800, v27
	v_add_co_ci_u32_e32 v57, vcc_lo, 0, v61, vcc_lo
	v_add_co_u32 v75, vcc_lo, 0xa80, v27
	v_lshlrev_b32_e32 v27, 3, v67
	v_add_co_ci_u32_e32 v76, vcc_lo, 0, v61, vcc_lo
	v_add_co_u32 v61, vcc_lo, s8, v77
	v_add_co_u32 v27, s1, s8, v27
	v_add_co_ci_u32_e64 v32, null, s9, 0, s1
	v_add_co_ci_u32_e32 v67, vcc_lo, s9, v78, vcc_lo
	s_clause 0x1
	global_load_dwordx4 v[71:74], v[56:57], off offset:640
	global_load_dwordx2 v[95:96], v[75:76], off offset:16
	v_add_co_u32 v56, vcc_lo, 0xa80, v27
	v_add_co_ci_u32_e32 v57, vcc_lo, 0, v32, vcc_lo
	v_add_co_u32 v75, vcc_lo, 0x800, v27
	v_add_co_ci_u32_e32 v76, vcc_lo, 0, v32, vcc_lo
	;; [unrolled: 2-line block ×3, first 2 shown]
	s_clause 0x1
	global_load_dwordx4 v[75:78], v[75:76], off offset:640
	global_load_dwordx2 v[97:98], v[56:57], off offset:16
	v_add_co_u32 v56, vcc_lo, 0xa80, v61
	v_mad_u32_u24 v32, v59, 3, 0xfffffec8
	v_add_co_ci_u32_e32 v57, vcc_lo, 0, v67, vcc_lo
	s_clause 0x1
	global_load_dwordx4 v[79:82], v[79:80], off offset:640
	global_load_dwordx2 v[99:100], v[56:57], off offset:16
	v_lshlrev_b64 v[56:57], 3, v[32:33]
	v_add_co_u32 v27, vcc_lo, s8, v56
	v_add_co_ci_u32_e32 v32, vcc_lo, s9, v57, vcc_lo
	v_add_co_u32 v56, vcc_lo, 0x800, v27
	v_add_co_ci_u32_e32 v57, vcc_lo, 0, v32, vcc_lo
	v_add_co_u32 v87, vcc_lo, 0xa80, v27
	v_add_co_ci_u32_e32 v88, vcc_lo, 0, v32, vcc_lo
	v_mad_u32_u24 v32, v59, 3, 0xfffffe2c
	s_clause 0x1
	global_load_dwordx4 v[83:86], v[56:57], off offset:640
	global_load_dwordx2 v[101:102], v[87:88], off offset:16
	v_lshlrev_b64 v[56:57], 3, v[32:33]
	v_add_co_u32 v27, vcc_lo, s8, v56
	v_add_co_ci_u32_e32 v32, vcc_lo, s9, v57, vcc_lo
	v_add_co_u32 v56, vcc_lo, 0x800, v27
	v_add_co_ci_u32_e32 v57, vcc_lo, 0, v32, vcc_lo
	;; [unrolled: 2-line block ×3, first 2 shown]
	v_mad_u32_u24 v32, v59, 3, 0xfffffd90
	s_clause 0x1
	global_load_dwordx4 v[87:90], v[56:57], off offset:640
	global_load_dwordx2 v[103:104], v[91:92], off offset:16
	v_lshlrev_b64 v[56:57], 3, v[32:33]
	v_add_co_u32 v27, vcc_lo, s8, v56
	v_add_co_ci_u32_e32 v32, vcc_lo, s9, v57, vcc_lo
	v_add_co_u32 v56, vcc_lo, 0x800, v27
	v_add_co_ci_u32_e32 v57, vcc_lo, 0, v32, vcc_lo
	;; [unrolled: 2-line block ×3, first 2 shown]
	s_clause 0x1
	global_load_dwordx4 v[91:94], v[56:57], off offset:640
	global_load_dwordx2 v[105:106], v[105:106], off offset:16
	v_mov_b32_e32 v27, v33
	v_mul_hi_u32 v32, 0x60f25deb, v25
	v_mov_b32_e32 v25, v33
	v_add_co_u32 v61, vcc_lo, s2, v28
	v_lshlrev_b64 v[26:27], 3, v[26:27]
	v_add_co_ci_u32_e32 v67, vcc_lo, s3, v29, vcc_lo
	v_lshlrev_b64 v[28:29], 3, v[24:25]
	v_lshrrev_b32_e32 v32, 7, v32
	v_mul_hi_u32 v56, 0x60f25deb, v59
	v_add_co_u32 v24, vcc_lo, v61, v26
	v_add_co_ci_u32_e32 v25, vcc_lo, v67, v27, vcc_lo
	v_add_co_u32 v107, vcc_lo, v61, v28
	v_add_co_ci_u32_e32 v108, vcc_lo, v67, v29, vcc_lo
	v_add_co_u32 v26, vcc_lo, 0x800, v24
	v_mul_u32_u24_e32 v32, 0x3f6, v32
	v_add_co_ci_u32_e32 v27, vcc_lo, 0, v25, vcc_lo
	v_add_co_u32 v28, vcc_lo, 0x1000, v24
	v_add_co_ci_u32_e32 v29, vcc_lo, 0, v25, vcc_lo
	v_lshrrev_b32_e32 v69, 7, v56
	v_add_co_u32 v56, vcc_lo, 0x1800, v24
	v_lshlrev_b64 v[109:110], 3, v[32:33]
	v_add_co_ci_u32_e32 v57, vcc_lo, 0, v25, vcc_lo
	v_add_co_u32 v111, vcc_lo, 0x2000, v24
	v_add_co_ci_u32_e32 v112, vcc_lo, 0, v25, vcc_lo
	v_mad_u32_u24 v32, 0x3f6, v69, v59
	v_add_co_u32 v109, vcc_lo, v24, v109
	v_add_co_ci_u32_e32 v110, vcc_lo, v25, v110, vcc_lo
	v_lshlrev_b64 v[113:114], 3, v[32:33]
	v_add_co_u32 v115, vcc_lo, 0x1000, v109
	v_add_co_ci_u32_e32 v116, vcc_lo, 0, v110, vcc_lo
	v_add_co_u32 v117, vcc_lo, 0x1800, v109
	v_add_co_ci_u32_e32 v118, vcc_lo, 0, v110, vcc_lo
	;; [unrolled: 2-line block ×7, first 2 shown]
	s_waitcnt vmcnt(11)
	v_mul_f32_e32 v32, v19, v74
	s_waitcnt lgkmcnt(2)
	v_mul_f32_e32 v59, v51, v72
	s_waitcnt vmcnt(10) lgkmcnt(0)
	v_mul_f32_e32 v61, v53, v96
	v_mul_f32_e32 v67, v55, v74
	;; [unrolled: 1-line block ×4, first 2 shown]
	v_fma_f32 v32, v55, v73, -v32
	v_fmac_f32_e32 v59, v21, v71
	v_fmac_f32_e32 v61, v23, v95
	;; [unrolled: 1-line block ×3, first 2 shown]
	v_fma_f32 v19, v51, v71, -v69
	v_fma_f32 v21, v53, v95, -v72
	v_sub_f32_e32 v32, v49, v32
	s_waitcnt vmcnt(9)
	v_mul_f32_e32 v74, v4, v78
	v_mul_f32_e32 v96, v6, v75
	s_waitcnt vmcnt(8)
	v_mul_f32_e32 v127, v8, v97
	v_mul_f32_e32 v78, v40, v78
	;; [unrolled: 1-line block ×4, first 2 shown]
	v_fma_f32 v23, v40, v77, -v74
	v_fmac_f32_e32 v96, v36, v76
	s_waitcnt vmcnt(7)
	v_mul_f32_e32 v128, v18, v82
	v_mul_f32_e32 v129, v50, v80
	s_waitcnt vmcnt(6)
	v_mul_f32_e32 v130, v52, v100
	v_mul_f32_e32 v82, v54, v82
	v_mul_f32_e32 v80, v20, v80
	v_mul_f32_e32 v100, v22, v100
	v_fmac_f32_e32 v127, v38, v98
	v_fmac_f32_e32 v78, v4, v77
	v_fma_f32 v4, v36, v75, -v6
	v_fma_f32 v6, v38, v97, -v8
	;; [unrolled: 1-line block ×3, first 2 shown]
	v_fmac_f32_e32 v129, v20, v79
	v_fmac_f32_e32 v130, v22, v99
	;; [unrolled: 1-line block ×3, first 2 shown]
	v_fma_f32 v20, v50, v79, -v80
	v_fma_f32 v18, v52, v99, -v100
	v_sub_f32_e32 v51, v59, v61
	v_sub_f32_e32 v52, v13, v67
	;; [unrolled: 1-line block ×6, first 2 shown]
	s_waitcnt vmcnt(5)
	v_mul_f32_e32 v22, v11, v86
	v_mul_f32_e32 v36, v15, v83
	;; [unrolled: 1-line block ×4, first 2 shown]
	s_waitcnt vmcnt(4)
	v_mul_f32_e32 v50, v17, v102
	v_mul_f32_e32 v38, v45, v102
	v_sub_f32_e32 v6, v4, v6
	v_sub_f32_e32 v55, v48, v8
	;; [unrolled: 1-line block ×4, first 2 shown]
	v_fma_f32 v22, v47, v85, -v22
	v_fmac_f32_e32 v36, v43, v84
	v_fmac_f32_e32 v40, v11, v85
	v_fma_f32 v43, v43, v83, -v15
	v_fma_f32 v11, v45, v101, -v50
	v_sub_f32_e32 v8, v129, v130
	v_fmac_f32_e32 v38, v17, v101
	v_sub_f32_e32 v15, v32, v51
	v_fma_f32 v49, v49, 2.0, -v32
	v_fma_f32 v73, v13, 2.0, -v52
	;; [unrolled: 1-line block ×3, first 2 shown]
	v_sub_f32_e32 v17, v23, v53
	v_fma_f32 v30, v30, 2.0, -v23
	v_fma_f32 v4, v4, 2.0, -v6
	s_waitcnt vmcnt(3)
	v_mul_f32_e32 v45, v10, v90
	v_mul_f32_e32 v47, v14, v87
	s_waitcnt vmcnt(2)
	v_mul_f32_e32 v50, v16, v103
	v_mul_f32_e32 v69, v46, v90
	;; [unrolled: 1-line block ×4, first 2 shown]
	v_add_f32_e32 v14, v52, v21
	v_fma_f32 v21, v19, 2.0, -v21
	v_add_f32_e32 v16, v54, v6
	v_fma_f32 v0, v0, 2.0, -v54
	v_fma_f32 v51, v96, 2.0, -v53
	v_add_f32_e32 v18, v61, v67
	v_fma_f32 v48, v48, 2.0, -v55
	v_fma_f32 v20, v20, 2.0, -v67
	v_sub_f32_e32 v67, v35, v22
	v_sub_f32_e32 v74, v43, v11
	v_fma_f32 v45, v46, v89, -v45
	v_fmac_f32_e32 v47, v42, v88
	v_fmac_f32_e32 v50, v44, v104
	;; [unrolled: 1-line block ×3, first 2 shown]
	v_fma_f32 v42, v42, v87, -v71
	v_fma_f32 v44, v44, v103, -v72
	v_sub_f32_e32 v19, v55, v8
	v_fma_f32 v53, v12, 2.0, -v61
	s_waitcnt vmcnt(1)
	v_mul_f32_e32 v46, v5, v94
	v_mul_f32_e32 v71, v7, v91
	s_waitcnt vmcnt(0)
	v_mul_f32_e32 v72, v9, v105
	v_mul_f32_e32 v75, v41, v94
	;; [unrolled: 1-line block ×4, first 2 shown]
	v_fma_f32 v59, v129, 2.0, -v8
	v_sub_f32_e32 v38, v36, v38
	v_sub_f32_e32 v40, v3, v40
	v_fma_f32 v7, v32, 2.0, -v15
	v_sub_f32_e32 v9, v49, v21
	v_sub_f32_e32 v8, v73, v13
	v_fma_f32 v11, v23, 2.0, -v17
	v_fma_f32 v10, v54, 2.0, -v16
	v_sub_f32_e32 v13, v30, v4
	v_sub_f32_e32 v12, v0, v51
	;; [unrolled: 1-line block ×3, first 2 shown]
	v_fma_f32 v32, v35, 2.0, -v67
	v_fma_f32 v35, v43, 2.0, -v74
	v_sub_f32_e32 v45, v34, v45
	v_sub_f32_e32 v50, v47, v50
	;; [unrolled: 1-line block ×4, first 2 shown]
	v_fma_f32 v41, v41, v93, -v46
	v_fmac_f32_e32 v71, v37, v92
	v_fmac_f32_e32 v72, v39, v106
	;; [unrolled: 1-line block ×3, first 2 shown]
	v_fma_f32 v5, v37, v91, -v76
	v_fma_f32 v39, v39, v105, -v77
	global_store_dwordx2 v[56:57], v[16:17], off offset:1968
	v_fma_f32 v17, v55, 2.0, -v19
	v_fma_f32 v16, v61, 2.0, -v18
	v_sub_f32_e32 v23, v67, v38
	v_add_f32_e32 v22, v40, v74
	v_fma_f32 v43, v3, 2.0, -v40
	v_fma_f32 v38, v36, 2.0, -v38
	global_store_dwordx2 v[119:120], v[18:19], off offset:1584
	v_fma_f32 v19, v30, 2.0, -v13
	v_fma_f32 v18, v0, 2.0, -v12
	global_store_dwordx2 v[26:27], v[10:11], off offset:656
	global_store_dwordx2 v[28:29], v[12:13], off offset:1312
	v_fma_f32 v11, v48, 2.0, -v21
	v_sub_f32_e32 v36, v32, v35
	v_add_f32_e32 v37, v51, v44
	v_fma_f32 v0, v34, 2.0, -v45
	v_fma_f32 v30, v42, 2.0, -v44
	;; [unrolled: 1-line block ×4, first 2 shown]
	v_sub_f32_e32 v44, v31, v41
	v_sub_f32_e32 v46, v71, v72
	;; [unrolled: 1-line block ×4, first 2 shown]
	v_fma_f32 v12, v40, 2.0, -v22
	v_sub_f32_e32 v35, v43, v38
	v_sub_f32_e32 v38, v45, v50
	global_store_dwordx2 v[111:112], v[22:23], off offset:1168
	global_store_dwordx2 v[24:25], v[18:19], off
	v_fma_f32 v19, v32, 2.0, -v36
	v_sub_f32_e32 v40, v0, v30
	v_sub_f32_e32 v39, v2, v34
	;; [unrolled: 1-line block ×3, first 2 shown]
	v_add_f32_e32 v41, v47, v48
	v_fma_f32 v32, v31, 2.0, -v44
	v_fma_f32 v5, v5, 2.0, -v48
	;; [unrolled: 1-line block ×5, first 2 shown]
	v_sub_f32_e32 v20, v53, v59
	global_store_dwordx2 v[111:112], v[37:38], off offset:752
	global_store_dwordx2 v[26:27], v[12:13], off offset:1904
	global_store_dwordx2 v[107:108], v[35:36], off
	v_fma_f32 v13, v44, 2.0, -v42
	v_fma_f32 v12, v47, 2.0, -v41
	v_sub_f32_e32 v31, v32, v5
	v_sub_f32_e32 v30, v34, v30
	v_fma_f32 v23, v45, 2.0, -v38
	v_fma_f32 v22, v51, 2.0, -v37
	;; [unrolled: 1-line block ×9, first 2 shown]
	global_store_dwordx2 v[111:112], v[41:42], off offset:336
	global_store_dwordx2 v[26:27], v[22:23], off offset:1488
	;; [unrolled: 1-line block ×5, first 2 shown]
	v_fma_f32 v19, v32, 2.0, -v31
	v_fma_f32 v18, v34, 2.0, -v30
	global_store_dwordx2 v[26:27], v[12:13], off offset:1072
	global_store_dwordx2 v[28:29], v[30:31], off offset:1728
	;; [unrolled: 1-line block ×8, first 2 shown]
	global_store_dwordx2 v[113:114], v[3:4], off
	global_store_dwordx2 v[125:126], v[14:15], off offset:1968
	s_and_b32 exec_lo, exec_lo, s0
	s_cbranch_execz .LBB0_18
; %bb.17:
	v_mul_i32_i24_e32 v32, 3, v58
	v_lshlrev_b64 v[0:1], 3, v[32:33]
	v_add_co_u32 v2, vcc_lo, s8, v0
	v_add_co_ci_u32_e32 v3, vcc_lo, s9, v1, vcc_lo
	v_add_co_u32 v0, vcc_lo, 0x800, v2
	v_add_co_ci_u32_e32 v1, vcc_lo, 0, v3, vcc_lo
	;; [unrolled: 2-line block ×3, first 2 shown]
	s_clause 0x1
	global_load_dwordx4 v[0:3], v[0:1], off offset:640
	global_load_dwordx2 v[4:5], v[4:5], off offset:16
	s_waitcnt vmcnt(1)
	v_mul_f32_e32 v6, v70, v1
	v_mul_f32_e32 v1, v62, v1
	;; [unrolled: 1-line block ×4, first 2 shown]
	s_waitcnt vmcnt(0)
	v_mul_f32_e32 v8, v65, v5
	v_mul_f32_e32 v5, v66, v5
	v_fmac_f32_e32 v6, v62, v0
	v_fma_f32 v0, v70, v0, -v1
	v_fmac_f32_e32 v7, v64, v2
	v_fma_f32 v1, v63, v2, -v3
	;; [unrolled: 2-line block ×3, first 2 shown]
	v_sub_f32_e32 v4, v60, v7
	v_sub_f32_e32 v5, v68, v1
	;; [unrolled: 1-line block ×4, first 2 shown]
	v_fma_f32 v7, v60, 2.0, -v4
	v_fma_f32 v8, v68, 2.0, -v5
	;; [unrolled: 1-line block ×4, first 2 shown]
	v_add_f32_e32 v0, v4, v2
	v_sub_f32_e32 v1, v5, v1
	v_sub_f32_e32 v2, v7, v3
	;; [unrolled: 1-line block ×3, first 2 shown]
	v_fma_f32 v4, v4, 2.0, -v0
	v_fma_f32 v5, v5, 2.0, -v1
	;; [unrolled: 1-line block ×4, first 2 shown]
	v_add_co_u32 v8, vcc_lo, 0x2800, v24
	v_add_co_ci_u32_e32 v9, vcc_lo, 0, v25, vcc_lo
	global_store_dwordx2 v[28:29], v[4:5], off offset:1104
	global_store_dwordx2 v[56:57], v[2:3], off offset:1760
	;; [unrolled: 1-line block ×4, first 2 shown]
.LBB0_18:
	s_endpgm
	.section	.rodata,"a",@progbits
	.p2align	6, 0x0
	.amdhsa_kernel fft_rtc_back_len1352_factors_2_13_13_4_wgs_52_tpt_52_halfLds_sp_ip_CI_unitstride_sbrr_dirReg
		.amdhsa_group_segment_fixed_size 0
		.amdhsa_private_segment_fixed_size 0
		.amdhsa_kernarg_size 88
		.amdhsa_user_sgpr_count 6
		.amdhsa_user_sgpr_private_segment_buffer 1
		.amdhsa_user_sgpr_dispatch_ptr 0
		.amdhsa_user_sgpr_queue_ptr 0
		.amdhsa_user_sgpr_kernarg_segment_ptr 1
		.amdhsa_user_sgpr_dispatch_id 0
		.amdhsa_user_sgpr_flat_scratch_init 0
		.amdhsa_user_sgpr_private_segment_size 0
		.amdhsa_wavefront_size32 1
		.amdhsa_uses_dynamic_stack 0
		.amdhsa_system_sgpr_private_segment_wavefront_offset 0
		.amdhsa_system_sgpr_workgroup_id_x 1
		.amdhsa_system_sgpr_workgroup_id_y 0
		.amdhsa_system_sgpr_workgroup_id_z 0
		.amdhsa_system_sgpr_workgroup_info 0
		.amdhsa_system_vgpr_workitem_id 0
		.amdhsa_next_free_vgpr 155
		.amdhsa_next_free_sgpr 21
		.amdhsa_reserve_vcc 1
		.amdhsa_reserve_flat_scratch 0
		.amdhsa_float_round_mode_32 0
		.amdhsa_float_round_mode_16_64 0
		.amdhsa_float_denorm_mode_32 3
		.amdhsa_float_denorm_mode_16_64 3
		.amdhsa_dx10_clamp 1
		.amdhsa_ieee_mode 1
		.amdhsa_fp16_overflow 0
		.amdhsa_workgroup_processor_mode 1
		.amdhsa_memory_ordered 1
		.amdhsa_forward_progress 0
		.amdhsa_shared_vgpr_count 0
		.amdhsa_exception_fp_ieee_invalid_op 0
		.amdhsa_exception_fp_denorm_src 0
		.amdhsa_exception_fp_ieee_div_zero 0
		.amdhsa_exception_fp_ieee_overflow 0
		.amdhsa_exception_fp_ieee_underflow 0
		.amdhsa_exception_fp_ieee_inexact 0
		.amdhsa_exception_int_div_zero 0
	.end_amdhsa_kernel
	.text
.Lfunc_end0:
	.size	fft_rtc_back_len1352_factors_2_13_13_4_wgs_52_tpt_52_halfLds_sp_ip_CI_unitstride_sbrr_dirReg, .Lfunc_end0-fft_rtc_back_len1352_factors_2_13_13_4_wgs_52_tpt_52_halfLds_sp_ip_CI_unitstride_sbrr_dirReg
                                        ; -- End function
	.section	.AMDGPU.csdata,"",@progbits
; Kernel info:
; codeLenInByte = 17916
; NumSgprs: 23
; NumVgprs: 155
; ScratchSize: 0
; MemoryBound: 0
; FloatMode: 240
; IeeeMode: 1
; LDSByteSize: 0 bytes/workgroup (compile time only)
; SGPRBlocks: 2
; VGPRBlocks: 19
; NumSGPRsForWavesPerEU: 23
; NumVGPRsForWavesPerEU: 155
; Occupancy: 6
; WaveLimiterHint : 1
; COMPUTE_PGM_RSRC2:SCRATCH_EN: 0
; COMPUTE_PGM_RSRC2:USER_SGPR: 6
; COMPUTE_PGM_RSRC2:TRAP_HANDLER: 0
; COMPUTE_PGM_RSRC2:TGID_X_EN: 1
; COMPUTE_PGM_RSRC2:TGID_Y_EN: 0
; COMPUTE_PGM_RSRC2:TGID_Z_EN: 0
; COMPUTE_PGM_RSRC2:TIDIG_COMP_CNT: 0
	.text
	.p2alignl 6, 3214868480
	.fill 48, 4, 3214868480
	.type	__hip_cuid_93b662687c4be318,@object ; @__hip_cuid_93b662687c4be318
	.section	.bss,"aw",@nobits
	.globl	__hip_cuid_93b662687c4be318
__hip_cuid_93b662687c4be318:
	.byte	0                               ; 0x0
	.size	__hip_cuid_93b662687c4be318, 1

	.ident	"AMD clang version 19.0.0git (https://github.com/RadeonOpenCompute/llvm-project roc-6.4.0 25133 c7fe45cf4b819c5991fe208aaa96edf142730f1d)"
	.section	".note.GNU-stack","",@progbits
	.addrsig
	.addrsig_sym __hip_cuid_93b662687c4be318
	.amdgpu_metadata
---
amdhsa.kernels:
  - .args:
      - .actual_access:  read_only
        .address_space:  global
        .offset:         0
        .size:           8
        .value_kind:     global_buffer
      - .offset:         8
        .size:           8
        .value_kind:     by_value
      - .actual_access:  read_only
        .address_space:  global
        .offset:         16
        .size:           8
        .value_kind:     global_buffer
      - .actual_access:  read_only
        .address_space:  global
        .offset:         24
        .size:           8
        .value_kind:     global_buffer
      - .offset:         32
        .size:           8
        .value_kind:     by_value
      - .actual_access:  read_only
        .address_space:  global
        .offset:         40
        .size:           8
        .value_kind:     global_buffer
      - .actual_access:  read_only
        .address_space:  global
        .offset:         48
        .size:           8
        .value_kind:     global_buffer
      - .offset:         56
        .size:           4
        .value_kind:     by_value
      - .actual_access:  read_only
        .address_space:  global
        .offset:         64
        .size:           8
        .value_kind:     global_buffer
      - .actual_access:  read_only
        .address_space:  global
        .offset:         72
        .size:           8
        .value_kind:     global_buffer
      - .address_space:  global
        .offset:         80
        .size:           8
        .value_kind:     global_buffer
    .group_segment_fixed_size: 0
    .kernarg_segment_align: 8
    .kernarg_segment_size: 88
    .language:       OpenCL C
    .language_version:
      - 2
      - 0
    .max_flat_workgroup_size: 52
    .name:           fft_rtc_back_len1352_factors_2_13_13_4_wgs_52_tpt_52_halfLds_sp_ip_CI_unitstride_sbrr_dirReg
    .private_segment_fixed_size: 0
    .sgpr_count:     23
    .sgpr_spill_count: 0
    .symbol:         fft_rtc_back_len1352_factors_2_13_13_4_wgs_52_tpt_52_halfLds_sp_ip_CI_unitstride_sbrr_dirReg.kd
    .uniform_work_group_size: 1
    .uses_dynamic_stack: false
    .vgpr_count:     155
    .vgpr_spill_count: 0
    .wavefront_size: 32
    .workgroup_processor_mode: 1
amdhsa.target:   amdgcn-amd-amdhsa--gfx1030
amdhsa.version:
  - 1
  - 2
...

	.end_amdgpu_metadata
